;; amdgpu-corpus repo=ROCm/rocFFT kind=compiled arch=gfx906 opt=O3
	.text
	.amdgcn_target "amdgcn-amd-amdhsa--gfx906"
	.amdhsa_code_object_version 6
	.protected	bluestein_single_back_len480_dim1_dp_op_CI_CI ; -- Begin function bluestein_single_back_len480_dim1_dp_op_CI_CI
	.globl	bluestein_single_back_len480_dim1_dp_op_CI_CI
	.p2align	8
	.type	bluestein_single_back_len480_dim1_dp_op_CI_CI,@function
bluestein_single_back_len480_dim1_dp_op_CI_CI: ; @bluestein_single_back_len480_dim1_dp_op_CI_CI
; %bb.0:
	s_load_dwordx4 s[12:15], s[4:5], 0x28
	s_mov_b64 s[26:27], s[2:3]
	v_lshrrev_b32_e32 v1, 4, v0
	v_mov_b32_e32 v133, 0
	s_mov_b64 s[24:25], s[0:1]
	v_lshl_or_b32 v2, s6, 2, v1
	v_mov_b32_e32 v3, v133
	s_add_u32 s24, s24, s7
	s_waitcnt lgkmcnt(0)
	v_cmp_gt_u64_e32 vcc, s[12:13], v[2:3]
	s_addc_u32 s25, s25, 0
	s_and_saveexec_b64 s[0:1], vcc
	s_cbranch_execz .LBB0_10
; %bb.1:
	s_load_dwordx4 s[8:11], s[4:5], 0x0
	s_load_dwordx4 s[0:3], s[4:5], 0x18
	s_load_dwordx2 s[12:13], s[4:5], 0x38
	v_mov_b32_e32 v3, v2
	v_and_b32_e32 v186, 15, v0
	v_mul_u32_u24_e32 v151, 0x1e0, v1
	s_waitcnt lgkmcnt(0)
	s_load_dwordx4 s[4:7], s[2:3], 0x0
	v_lshlrev_b32_e32 v173, 4, v186
	s_load_dwordx4 s[0:3], s[0:1], 0x0
	buffer_store_dword v3, off, s[24:27], 0 offset:180 ; 4-byte Folded Spill
	s_nop 0
	buffer_store_dword v4, off, s[24:27], 0 offset:184 ; 4-byte Folded Spill
	global_load_dwordx4 v[10:13], v173, s[8:9]
	v_or_b32_e32 v6, v151, v186
	v_lshlrev_b32_e32 v240, 4, v6
	s_waitcnt lgkmcnt(0)
	v_mad_u64_u32 v[0:1], s[16:17], s2, v2, 0
	v_lshl_or_b32 v196, v151, 4, v173
	s_mov_b32 s16, 0x134454ff
	v_mad_u64_u32 v[1:2], s[2:3], s3, v2, v[1:2]
	v_mad_u64_u32 v[2:3], s[2:3], s0, v186, 0
	v_lshlrev_b64 v[0:1], 4, v[0:1]
	s_mov_b32 s17, 0x3fee6f0e
	s_mov_b32 s18, 0x4755a5e
	;; [unrolled: 1-line block ×5, first 2 shown]
	v_or_b32_e32 v134, 16, v186
	v_or_b32_e32 v157, 32, v186
	;; [unrolled: 1-line block ×3, first 2 shown]
	v_mad_u64_u32 v[3:4], s[2:3], s1, v186, v[3:4]
	v_add_co_u32_e32 v4, vcc, s14, v0
	v_mov_b32_e32 v0, s15
	v_addc_co_u32_e32 v5, vcc, v0, v1, vcc
	v_lshlrev_b64 v[0:1], 4, v[2:3]
	s_mul_i32 s2, s1, 0x300
	v_add_co_u32_e32 v8, vcc, v4, v0
	v_addc_co_u32_e32 v9, vcc, v5, v1, vcc
	global_load_dwordx4 v[0:3], v[8:9], off
	s_mul_hi_u32 s3, s0, 0x300
	s_add_i32 s2, s3, s2
	s_mul_i32 s3, s0, 0x300
	v_add_co_u32_e32 v8, vcc, s3, v8
	s_mulk_i32 s1, 0xe600
	s_sub_i32 s1, s1, s0
	s_waitcnt vmcnt(0)
	v_mul_f64 v[4:5], v[2:3], v[12:13]
	v_fma_f64 v[4:5], v[0:1], v[10:11], v[4:5]
	v_mul_f64 v[0:1], v[0:1], v[12:13]
	buffer_store_dword v10, off, s[24:27], 0 offset:240 ; 4-byte Folded Spill
	s_nop 0
	buffer_store_dword v11, off, s[24:27], 0 offset:244 ; 4-byte Folded Spill
	buffer_store_dword v12, off, s[24:27], 0 offset:248 ; 4-byte Folded Spill
	;; [unrolled: 1-line block ×3, first 2 shown]
	v_fma_f64 v[6:7], v[2:3], v[10:11], -v[0:1]
	v_mov_b32_e32 v0, s2
	v_addc_co_u32_e32 v9, vcc, v9, v0, vcc
	ds_write_b128 v240, v[4:7]
	global_load_dwordx4 v[0:3], v[8:9], off
	global_load_dwordx4 v[10:13], v173, s[8:9] offset:768
	v_add_co_u32_e32 v8, vcc, s3, v8
	s_waitcnt vmcnt(0)
	v_mul_f64 v[4:5], v[2:3], v[12:13]
	v_fma_f64 v[4:5], v[0:1], v[10:11], v[4:5]
	v_mul_f64 v[0:1], v[0:1], v[12:13]
	buffer_store_dword v10, off, s[24:27], 0 offset:36 ; 4-byte Folded Spill
	s_nop 0
	buffer_store_dword v11, off, s[24:27], 0 offset:40 ; 4-byte Folded Spill
	buffer_store_dword v12, off, s[24:27], 0 offset:44 ; 4-byte Folded Spill
	buffer_store_dword v13, off, s[24:27], 0 offset:48 ; 4-byte Folded Spill
	v_fma_f64 v[6:7], v[2:3], v[10:11], -v[0:1]
	v_mov_b32_e32 v0, s2
	v_addc_co_u32_e32 v9, vcc, v9, v0, vcc
	ds_write_b128 v196, v[4:7] offset:768
	global_load_dwordx4 v[0:3], v[8:9], off
	global_load_dwordx4 v[10:13], v173, s[8:9] offset:1536
	v_add_co_u32_e32 v8, vcc, s3, v8
	s_waitcnt vmcnt(0)
	v_mul_f64 v[4:5], v[2:3], v[12:13]
	v_fma_f64 v[4:5], v[0:1], v[10:11], v[4:5]
	v_mul_f64 v[0:1], v[0:1], v[12:13]
	buffer_store_dword v10, off, s[24:27], 0 offset:68 ; 4-byte Folded Spill
	s_nop 0
	buffer_store_dword v11, off, s[24:27], 0 offset:72 ; 4-byte Folded Spill
	buffer_store_dword v12, off, s[24:27], 0 offset:76 ; 4-byte Folded Spill
	buffer_store_dword v13, off, s[24:27], 0 offset:80 ; 4-byte Folded Spill
	v_fma_f64 v[6:7], v[2:3], v[10:11], -v[0:1]
	v_mov_b32_e32 v0, s2
	v_addc_co_u32_e32 v9, vcc, v9, v0, vcc
	ds_write_b128 v196, v[4:7] offset:1536
	global_load_dwordx4 v[0:3], v[8:9], off
	global_load_dwordx4 v[10:13], v173, s[8:9] offset:2304
	v_add_co_u32_e32 v8, vcc, s3, v8
	s_waitcnt vmcnt(0)
	v_mul_f64 v[4:5], v[2:3], v[12:13]
	v_fma_f64 v[4:5], v[0:1], v[10:11], v[4:5]
	v_mul_f64 v[0:1], v[0:1], v[12:13]
	buffer_store_dword v10, off, s[24:27], 0 offset:52 ; 4-byte Folded Spill
	s_nop 0
	buffer_store_dword v11, off, s[24:27], 0 offset:56 ; 4-byte Folded Spill
	buffer_store_dword v12, off, s[24:27], 0 offset:60 ; 4-byte Folded Spill
	buffer_store_dword v13, off, s[24:27], 0 offset:64 ; 4-byte Folded Spill
	v_fma_f64 v[6:7], v[2:3], v[10:11], -v[0:1]
	v_mov_b32_e32 v0, s2
	v_addc_co_u32_e32 v9, vcc, v9, v0, vcc
	ds_write_b128 v196, v[4:7] offset:2304
	global_load_dwordx4 v[0:3], v[8:9], off
	global_load_dwordx4 v[10:13], v173, s[8:9] offset:3072
	v_add_co_u32_e32 v8, vcc, s3, v8
	s_waitcnt vmcnt(0)
	v_mul_f64 v[4:5], v[2:3], v[12:13]
	v_fma_f64 v[4:5], v[0:1], v[10:11], v[4:5]
	v_mul_f64 v[0:1], v[0:1], v[12:13]
	buffer_store_dword v10, off, s[24:27], 0 offset:116 ; 4-byte Folded Spill
	s_nop 0
	buffer_store_dword v11, off, s[24:27], 0 offset:120 ; 4-byte Folded Spill
	buffer_store_dword v12, off, s[24:27], 0 offset:124 ; 4-byte Folded Spill
	buffer_store_dword v13, off, s[24:27], 0 offset:128 ; 4-byte Folded Spill
	v_fma_f64 v[6:7], v[2:3], v[10:11], -v[0:1]
	v_mov_b32_e32 v0, s2
	v_addc_co_u32_e32 v9, vcc, v9, v0, vcc
	ds_write_b128 v196, v[4:7] offset:3072
	global_load_dwordx4 v[0:3], v[8:9], off
	global_load_dwordx4 v[10:13], v173, s[8:9] offset:3840
	v_add_co_u32_e32 v8, vcc, s3, v8
	s_waitcnt vmcnt(0)
	v_mul_f64 v[4:5], v[2:3], v[12:13]
	v_fma_f64 v[4:5], v[0:1], v[10:11], v[4:5]
	v_mul_f64 v[0:1], v[0:1], v[12:13]
	buffer_store_dword v10, off, s[24:27], 0 offset:84 ; 4-byte Folded Spill
	s_nop 0
	buffer_store_dword v11, off, s[24:27], 0 offset:88 ; 4-byte Folded Spill
	buffer_store_dword v12, off, s[24:27], 0 offset:92 ; 4-byte Folded Spill
	buffer_store_dword v13, off, s[24:27], 0 offset:96 ; 4-byte Folded Spill
	v_fma_f64 v[6:7], v[2:3], v[10:11], -v[0:1]
	v_mov_b32_e32 v0, s2
	v_addc_co_u32_e32 v9, vcc, v9, v0, vcc
	global_load_dwordx4 v[0:3], v[8:9], off
	v_add_co_u32_e32 v8, vcc, s3, v8
	ds_write_b128 v196, v[4:7] offset:3840
	v_or_b32_e32 v4, 0x120, v186
	v_lshlrev_b32_e32 v4, 4, v4
	global_load_dwordx4 v[10:13], v4, s[8:9]
	s_nop 0
	buffer_store_dword v4, off, s[24:27], 0 offset:560 ; 4-byte Folded Spill
	s_waitcnt vmcnt(1)
	v_mul_f64 v[4:5], v[2:3], v[12:13]
	v_fma_f64 v[4:5], v[0:1], v[10:11], v[4:5]
	v_mul_f64 v[0:1], v[0:1], v[12:13]
	buffer_store_dword v10, off, s[24:27], 0 offset:132 ; 4-byte Folded Spill
	s_nop 0
	buffer_store_dword v11, off, s[24:27], 0 offset:136 ; 4-byte Folded Spill
	buffer_store_dword v12, off, s[24:27], 0 offset:140 ; 4-byte Folded Spill
	buffer_store_dword v13, off, s[24:27], 0 offset:144 ; 4-byte Folded Spill
	v_fma_f64 v[6:7], v[2:3], v[10:11], -v[0:1]
	v_mov_b32_e32 v0, s2
	v_addc_co_u32_e32 v9, vcc, v9, v0, vcc
	global_load_dwordx4 v[0:3], v[8:9], off
	v_add_co_u32_e32 v8, vcc, s3, v8
	ds_write_b128 v196, v[4:7] offset:4608
	v_or_b32_e32 v4, 0x150, v186
	v_lshlrev_b32_e32 v4, 4, v4
	global_load_dwordx4 v[10:13], v4, s[8:9]
	s_nop 0
	buffer_store_dword v4, off, s[24:27], 0 offset:548 ; 4-byte Folded Spill
	;; [unrolled: 20-line block ×3, first 2 shown]
	s_waitcnt vmcnt(1)
	v_mul_f64 v[4:5], v[2:3], v[12:13]
	v_fma_f64 v[4:5], v[0:1], v[10:11], v[4:5]
	v_mul_f64 v[0:1], v[0:1], v[12:13]
	buffer_store_dword v10, off, s[24:27], 0 offset:164 ; 4-byte Folded Spill
	s_nop 0
	buffer_store_dword v11, off, s[24:27], 0 offset:168 ; 4-byte Folded Spill
	buffer_store_dword v12, off, s[24:27], 0 offset:172 ; 4-byte Folded Spill
	;; [unrolled: 1-line block ×3, first 2 shown]
	v_fma_f64 v[6:7], v[2:3], v[10:11], -v[0:1]
	v_mov_b32_e32 v0, s2
	v_addc_co_u32_e32 v9, vcc, v9, v0, vcc
	global_load_dwordx4 v[0:3], v[8:9], off
	ds_write_b128 v196, v[4:7] offset:6144
	v_or_b32_e32 v4, 0x1b0, v186
	v_lshlrev_b32_e32 v4, 4, v4
	global_load_dwordx4 v[10:13], v4, s[8:9]
	s_nop 0
	buffer_store_dword v4, off, s[24:27], 0 offset:556 ; 4-byte Folded Spill
	s_waitcnt vmcnt(1)
	v_mul_f64 v[4:5], v[2:3], v[12:13]
	v_fma_f64 v[4:5], v[0:1], v[10:11], v[4:5]
	v_mul_f64 v[0:1], v[0:1], v[12:13]
	buffer_store_dword v10, off, s[24:27], 0 offset:148 ; 4-byte Folded Spill
	s_nop 0
	buffer_store_dword v11, off, s[24:27], 0 offset:152 ; 4-byte Folded Spill
	buffer_store_dword v12, off, s[24:27], 0 offset:156 ; 4-byte Folded Spill
	;; [unrolled: 1-line block ×3, first 2 shown]
	v_fma_f64 v[6:7], v[2:3], v[10:11], -v[0:1]
	v_mov_b32_e32 v10, 0xffffe600
	v_mad_u64_u32 v[8:9], s[14:15], s0, v10, v[8:9]
	v_add_u32_e32 v9, s1, v9
	ds_write_b128 v196, v[4:7] offset:6912
	global_load_dwordx4 v[0:3], v[8:9], off
	global_load_dwordx4 v[11:14], v173, s[8:9] offset:256
	v_add_co_u32_e32 v8, vcc, s3, v8
	s_waitcnt vmcnt(0)
	v_mul_f64 v[4:5], v[2:3], v[13:14]
	v_fma_f64 v[4:5], v[0:1], v[11:12], v[4:5]
	v_mul_f64 v[0:1], v[0:1], v[13:14]
	buffer_store_dword v11, off, s[24:27], 0 offset:192 ; 4-byte Folded Spill
	s_nop 0
	buffer_store_dword v12, off, s[24:27], 0 offset:196 ; 4-byte Folded Spill
	buffer_store_dword v13, off, s[24:27], 0 offset:200 ; 4-byte Folded Spill
	buffer_store_dword v14, off, s[24:27], 0 offset:204 ; 4-byte Folded Spill
	v_fma_f64 v[6:7], v[2:3], v[11:12], -v[0:1]
	v_mov_b32_e32 v0, s2
	v_addc_co_u32_e32 v9, vcc, v9, v0, vcc
	ds_write_b128 v196, v[4:7] offset:256
	global_load_dwordx4 v[0:3], v[8:9], off
	global_load_dwordx4 v[11:14], v173, s[8:9] offset:1024
	v_add_co_u32_e32 v8, vcc, s3, v8
	s_waitcnt vmcnt(0)
	v_mul_f64 v[4:5], v[2:3], v[13:14]
	v_fma_f64 v[4:5], v[0:1], v[11:12], v[4:5]
	v_mul_f64 v[0:1], v[0:1], v[13:14]
	buffer_store_dword v11, off, s[24:27], 0 offset:208 ; 4-byte Folded Spill
	s_nop 0
	buffer_store_dword v12, off, s[24:27], 0 offset:212 ; 4-byte Folded Spill
	buffer_store_dword v13, off, s[24:27], 0 offset:216 ; 4-byte Folded Spill
	buffer_store_dword v14, off, s[24:27], 0 offset:220 ; 4-byte Folded Spill
	v_fma_f64 v[6:7], v[2:3], v[11:12], -v[0:1]
	v_mov_b32_e32 v0, s2
	v_addc_co_u32_e32 v9, vcc, v9, v0, vcc
	;; [unrolled: 16-line block ×5, first 2 shown]
	global_load_dwordx4 v[0:3], v[8:9], off
	v_add_co_u32_e32 v8, vcc, s3, v8
	ds_write_b128 v196, v[4:7] offset:3328
	v_or_b32_e32 v4, 0x100, v186
	v_lshlrev_b32_e32 v4, 4, v4
	global_load_dwordx4 v[11:14], v4, s[8:9]
	s_nop 0
	buffer_store_dword v4, off, s[24:27], 0 offset:540 ; 4-byte Folded Spill
	s_waitcnt vmcnt(1)
	v_mul_f64 v[4:5], v[2:3], v[13:14]
	v_fma_f64 v[4:5], v[0:1], v[11:12], v[4:5]
	v_mul_f64 v[0:1], v[0:1], v[13:14]
	buffer_store_dword v11, off, s[24:27], 0 offset:288 ; 4-byte Folded Spill
	s_nop 0
	buffer_store_dword v12, off, s[24:27], 0 offset:292 ; 4-byte Folded Spill
	buffer_store_dword v13, off, s[24:27], 0 offset:296 ; 4-byte Folded Spill
	buffer_store_dword v14, off, s[24:27], 0 offset:300 ; 4-byte Folded Spill
	v_fma_f64 v[6:7], v[2:3], v[11:12], -v[0:1]
	v_mov_b32_e32 v0, s2
	v_addc_co_u32_e32 v9, vcc, v9, v0, vcc
	global_load_dwordx4 v[0:3], v[8:9], off
	v_add_co_u32_e32 v8, vcc, s3, v8
	ds_write_b128 v196, v[4:7] offset:4096
	v_or_b32_e32 v4, 0x130, v186
	v_lshlrev_b32_e32 v4, 4, v4
	global_load_dwordx4 v[11:14], v4, s[8:9]
	s_nop 0
	buffer_store_dword v4, off, s[24:27], 0 offset:544 ; 4-byte Folded Spill
	s_waitcnt vmcnt(1)
	v_mul_f64 v[4:5], v[2:3], v[13:14]
	v_fma_f64 v[4:5], v[0:1], v[11:12], v[4:5]
	v_mul_f64 v[0:1], v[0:1], v[13:14]
	buffer_store_dword v11, off, s[24:27], 0 offset:320 ; 4-byte Folded Spill
	s_nop 0
	buffer_store_dword v12, off, s[24:27], 0 offset:324 ; 4-byte Folded Spill
	buffer_store_dword v13, off, s[24:27], 0 offset:328 ; 4-byte Folded Spill
	buffer_store_dword v14, off, s[24:27], 0 offset:332 ; 4-byte Folded Spill
	v_fma_f64 v[6:7], v[2:3], v[11:12], -v[0:1]
	v_mov_b32_e32 v0, s2
	v_addc_co_u32_e32 v9, vcc, v9, v0, vcc
	;; [unrolled: 20-line block ×4, first 2 shown]
	global_load_dwordx4 v[0:3], v[8:9], off
	v_mad_u64_u32 v[8:9], s[14:15], s0, v10, v[8:9]
	s_mov_b32 s15, 0xbfe2cf23
	ds_write_b128 v196, v[4:7] offset:6400
	v_or_b32_e32 v4, 0x1c0, v186
	v_lshlrev_b32_e32 v4, 4, v4
	global_load_dwordx4 v[11:14], v4, s[8:9]
	v_add_u32_e32 v9, s1, v9
	buffer_store_dword v4, off, s[24:27], 0 offset:536 ; 4-byte Folded Spill
	s_mov_b32 s14, s18
	s_mov_b32 s0, 0x372fe950
	;; [unrolled: 1-line block ×3, first 2 shown]
	s_waitcnt vmcnt(1)
	v_mul_f64 v[4:5], v[2:3], v[13:14]
	v_fma_f64 v[4:5], v[0:1], v[11:12], v[4:5]
	v_mul_f64 v[0:1], v[0:1], v[13:14]
	buffer_store_dword v11, off, s[24:27], 0 offset:304 ; 4-byte Folded Spill
	s_nop 0
	buffer_store_dword v12, off, s[24:27], 0 offset:308 ; 4-byte Folded Spill
	buffer_store_dword v13, off, s[24:27], 0 offset:312 ; 4-byte Folded Spill
	;; [unrolled: 1-line block ×3, first 2 shown]
	v_fma_f64 v[6:7], v[2:3], v[11:12], -v[0:1]
	ds_write_b128 v196, v[4:7] offset:7168
	global_load_dwordx4 v[0:3], v[8:9], off
	global_load_dwordx4 v[10:13], v173, s[8:9] offset:512
	v_add_co_u32_e32 v8, vcc, s3, v8
	s_waitcnt vmcnt(0)
	v_mul_f64 v[4:5], v[2:3], v[12:13]
	v_fma_f64 v[4:5], v[0:1], v[10:11], v[4:5]
	v_mul_f64 v[0:1], v[0:1], v[12:13]
	buffer_store_dword v10, off, s[24:27], 0 offset:368 ; 4-byte Folded Spill
	s_nop 0
	buffer_store_dword v11, off, s[24:27], 0 offset:372 ; 4-byte Folded Spill
	buffer_store_dword v12, off, s[24:27], 0 offset:376 ; 4-byte Folded Spill
	buffer_store_dword v13, off, s[24:27], 0 offset:380 ; 4-byte Folded Spill
	v_fma_f64 v[6:7], v[2:3], v[10:11], -v[0:1]
	v_mov_b32_e32 v0, s2
	v_addc_co_u32_e32 v9, vcc, v9, v0, vcc
	ds_write_b128 v196, v[4:7] offset:512
	global_load_dwordx4 v[0:3], v[8:9], off
	global_load_dwordx4 v[10:13], v173, s[8:9] offset:1280
	v_add_co_u32_e32 v8, vcc, s3, v8
	s_waitcnt vmcnt(0)
	v_mul_f64 v[4:5], v[2:3], v[12:13]
	v_fma_f64 v[4:5], v[0:1], v[10:11], v[4:5]
	v_mul_f64 v[0:1], v[0:1], v[12:13]
	buffer_store_dword v10, off, s[24:27], 0 offset:384 ; 4-byte Folded Spill
	s_nop 0
	buffer_store_dword v11, off, s[24:27], 0 offset:388 ; 4-byte Folded Spill
	buffer_store_dword v12, off, s[24:27], 0 offset:392 ; 4-byte Folded Spill
	buffer_store_dword v13, off, s[24:27], 0 offset:396 ; 4-byte Folded Spill
	v_fma_f64 v[6:7], v[2:3], v[10:11], -v[0:1]
	v_mov_b32_e32 v0, s2
	v_addc_co_u32_e32 v9, vcc, v9, v0, vcc
	;; [unrolled: 16-line block ×5, first 2 shown]
	global_load_dwordx4 v[0:3], v[8:9], off
	v_add_co_u32_e32 v8, vcc, s3, v8
	ds_write_b128 v196, v[4:7] offset:3584
	v_or_b32_e32 v4, 0x110, v186
	v_lshlrev_b32_e32 v4, 4, v4
	global_load_dwordx4 v[10:13], v4, s[8:9]
	s_nop 0
	buffer_store_dword v4, off, s[24:27], 0 offset:564 ; 4-byte Folded Spill
	s_waitcnt vmcnt(1)
	v_mul_f64 v[4:5], v[2:3], v[12:13]
	v_fma_f64 v[4:5], v[0:1], v[10:11], v[4:5]
	v_mul_f64 v[0:1], v[0:1], v[12:13]
	buffer_store_dword v10, off, s[24:27], 0 offset:448 ; 4-byte Folded Spill
	s_nop 0
	buffer_store_dword v11, off, s[24:27], 0 offset:452 ; 4-byte Folded Spill
	buffer_store_dword v12, off, s[24:27], 0 offset:456 ; 4-byte Folded Spill
	buffer_store_dword v13, off, s[24:27], 0 offset:460 ; 4-byte Folded Spill
	v_fma_f64 v[6:7], v[2:3], v[10:11], -v[0:1]
	v_mov_b32_e32 v0, s2
	v_addc_co_u32_e32 v9, vcc, v9, v0, vcc
	global_load_dwordx4 v[0:3], v[8:9], off
	v_add_co_u32_e32 v8, vcc, s3, v8
	ds_write_b128 v196, v[4:7] offset:4352
	v_or_b32_e32 v4, 0x140, v186
	v_lshlrev_b32_e32 v4, 4, v4
	global_load_dwordx4 v[10:13], v4, s[8:9]
	s_nop 0
	buffer_store_dword v4, off, s[24:27], 0 offset:568 ; 4-byte Folded Spill
	s_waitcnt vmcnt(1)
	v_mul_f64 v[4:5], v[2:3], v[12:13]
	v_fma_f64 v[4:5], v[0:1], v[10:11], v[4:5]
	v_mul_f64 v[0:1], v[0:1], v[12:13]
	buffer_store_dword v10, off, s[24:27], 0 offset:464 ; 4-byte Folded Spill
	s_nop 0
	buffer_store_dword v11, off, s[24:27], 0 offset:468 ; 4-byte Folded Spill
	buffer_store_dword v12, off, s[24:27], 0 offset:472 ; 4-byte Folded Spill
	buffer_store_dword v13, off, s[24:27], 0 offset:476 ; 4-byte Folded Spill
	v_fma_f64 v[6:7], v[2:3], v[10:11], -v[0:1]
	v_mov_b32_e32 v0, s2
	v_addc_co_u32_e32 v9, vcc, v9, v0, vcc
	;; [unrolled: 20-line block ×3, first 2 shown]
	global_load_dwordx4 v[0:3], v[8:9], off
	ds_write_b128 v196, v[4:7] offset:5888
	v_or_b32_e32 v4, 0x1a0, v186
	v_lshlrev_b32_e32 v4, 4, v4
	global_load_dwordx4 v[10:13], v4, s[8:9]
	s_nop 0
	buffer_store_dword v4, off, s[24:27], 0 offset:576 ; 4-byte Folded Spill
	s_waitcnt vmcnt(1)
	v_mul_f64 v[4:5], v[2:3], v[12:13]
	v_fma_f64 v[4:5], v[0:1], v[10:11], v[4:5]
	v_mul_f64 v[0:1], v[0:1], v[12:13]
	buffer_store_dword v10, off, s[24:27], 0 offset:496 ; 4-byte Folded Spill
	s_nop 0
	buffer_store_dword v11, off, s[24:27], 0 offset:500 ; 4-byte Folded Spill
	buffer_store_dword v12, off, s[24:27], 0 offset:504 ; 4-byte Folded Spill
	;; [unrolled: 1-line block ×3, first 2 shown]
	v_fma_f64 v[6:7], v[2:3], v[10:11], -v[0:1]
	v_add_co_u32_e32 v0, vcc, s3, v8
	v_mov_b32_e32 v1, s2
	v_addc_co_u32_e32 v1, vcc, v9, v1, vcc
	global_load_dwordx4 v[0:3], v[0:1], off
	s_mov_b32 s3, 0xbfee6f0e
	ds_write_b128 v196, v[4:7] offset:6656
	v_or_b32_e32 v4, 0x1d0, v186
	v_lshlrev_b32_e32 v4, 4, v4
	global_load_dwordx4 v[6:9], v4, s[8:9]
	s_mov_b32 s2, s16
	buffer_store_dword v4, off, s[24:27], 0 offset:580 ; 4-byte Folded Spill
	v_cmp_gt_u64_e32 vcc, 60, v[132:133]
	s_waitcnt vmcnt(1)
	v_mul_f64 v[4:5], v[2:3], v[8:9]
	v_fma_f64 v[4:5], v[0:1], v[6:7], v[4:5]
	v_mul_f64 v[0:1], v[0:1], v[8:9]
	buffer_store_dword v6, off, s[24:27], 0 offset:512 ; 4-byte Folded Spill
	s_nop 0
	buffer_store_dword v7, off, s[24:27], 0 offset:516 ; 4-byte Folded Spill
	buffer_store_dword v8, off, s[24:27], 0 offset:520 ; 4-byte Folded Spill
	;; [unrolled: 1-line block ×3, first 2 shown]
	v_fma_f64 v[6:7], v[2:3], v[6:7], -v[0:1]
	ds_write_b128 v196, v[4:7] offset:7424
	s_waitcnt lgkmcnt(0)
	; wave barrier
	s_waitcnt lgkmcnt(0)
	ds_read_b128 v[64:67], v240
	ds_read_b128 v[44:47], v196 offset:768
	ds_read_b128 v[60:63], v196 offset:1536
	;; [unrolled: 1-line block ×29, first 2 shown]
	s_waitcnt lgkmcnt(14)
	v_add_f64 v[74:75], v[68:69], v[108:109]
	v_add_f64 v[116:117], v[62:63], -v[114:115]
	v_add_f64 v[118:119], v[70:71], -v[110:111]
	;; [unrolled: 1-line block ×4, first 2 shown]
	v_add_f64 v[72:73], v[64:65], v[60:61]
	v_add_f64 v[137:138], v[108:109], -v[112:113]
	s_waitcnt lgkmcnt(0)
	v_fma_f64 v[76:77], v[74:75], -0.5, v[64:65]
	; wave barrier
	v_add_f64 v[78:79], v[78:79], v[135:136]
	v_add_f64 v[135:136], v[68:69], -v[60:61]
	v_add_f64 v[72:73], v[72:73], v[68:69]
	v_add_f64 v[68:69], v[68:69], -v[108:109]
	v_fma_f64 v[74:75], v[116:117], s[16:17], v[76:77]
	v_fma_f64 v[76:77], v[116:117], s[2:3], v[76:77]
	v_add_f64 v[135:136], v[135:136], v[137:138]
	v_add_f64 v[72:73], v[72:73], v[108:109]
	v_fma_f64 v[74:75], v[118:119], s[18:19], v[74:75]
	v_fma_f64 v[76:77], v[118:119], s[14:15], v[76:77]
	v_add_f64 v[72:73], v[72:73], v[112:113]
	v_fma_f64 v[74:75], v[78:79], s[0:1], v[74:75]
	v_fma_f64 v[78:79], v[78:79], s[0:1], v[76:77]
	v_add_f64 v[76:77], v[60:61], v[112:113]
	v_add_f64 v[60:61], v[60:61], -v[112:113]
	v_fma_f64 v[64:65], v[76:77], -0.5, v[64:65]
	v_fma_f64 v[76:77], v[118:119], s[2:3], v[64:65]
	v_fma_f64 v[64:65], v[118:119], s[16:17], v[64:65]
	v_add_f64 v[118:119], v[114:115], -v[110:111]
	v_fma_f64 v[76:77], v[116:117], s[18:19], v[76:77]
	v_fma_f64 v[64:65], v[116:117], s[14:15], v[64:65]
	;; [unrolled: 1-line block ×3, first 2 shown]
	v_add_f64 v[76:77], v[66:67], v[62:63]
	v_fma_f64 v[64:65], v[135:136], s[0:1], v[64:65]
	v_add_f64 v[135:136], v[52:53], -v[56:57]
	v_add_f64 v[76:77], v[76:77], v[70:71]
	v_add_f64 v[76:77], v[76:77], v[110:111]
	;; [unrolled: 1-line block ×4, first 2 shown]
	v_fma_f64 v[76:77], v[76:77], -0.5, v[66:67]
	v_fma_f64 v[112:113], v[60:61], s[2:3], v[76:77]
	v_fma_f64 v[76:77], v[60:61], s[16:17], v[76:77]
	;; [unrolled: 1-line block ×3, first 2 shown]
	v_add_f64 v[112:113], v[62:63], -v[70:71]
	v_fma_f64 v[76:77], v[68:69], s[18:19], v[76:77]
	v_add_f64 v[112:113], v[112:113], v[118:119]
	v_add_f64 v[118:119], v[56:57], -v[52:53]
	v_fma_f64 v[108:109], v[112:113], s[0:1], v[108:109]
	v_fma_f64 v[112:113], v[112:113], s[0:1], v[76:77]
	v_add_f64 v[76:77], v[62:63], v[114:115]
	v_add_f64 v[62:63], v[70:71], -v[62:63]
	v_add_f64 v[70:71], v[110:111], -v[114:115]
	;; [unrolled: 1-line block ×4, first 2 shown]
	v_fma_f64 v[66:67], v[76:77], -0.5, v[66:67]
	v_add_f64 v[62:63], v[62:63], v[70:71]
	v_add_f64 v[114:115], v[114:115], v[118:119]
	v_add_f64 v[118:119], v[48:49], -v[40:41]
	v_fma_f64 v[76:77], v[68:69], s[16:17], v[66:67]
	v_fma_f64 v[66:67], v[68:69], s[2:3], v[66:67]
	v_add_f64 v[68:69], v[42:43], -v[58:59]
	v_add_f64 v[118:119], v[118:119], v[135:136]
	v_fma_f64 v[76:77], v[60:61], s[14:15], v[76:77]
	v_fma_f64 v[60:61], v[60:61], s[18:19], v[66:67]
	v_add_f64 v[66:67], v[48:49], v[52:53]
	v_fma_f64 v[70:71], v[62:63], s[0:1], v[76:77]
	v_fma_f64 v[62:63], v[62:63], s[0:1], v[60:61]
	v_fma_f64 v[66:67], v[66:67], -0.5, v[44:45]
	v_add_f64 v[60:61], v[44:45], v[40:41]
	v_fma_f64 v[76:77], v[68:69], s[16:17], v[66:67]
	v_fma_f64 v[66:67], v[68:69], s[2:3], v[66:67]
	v_add_f64 v[60:61], v[60:61], v[48:49]
	v_add_f64 v[48:49], v[48:49], -v[52:53]
	v_fma_f64 v[76:77], v[110:111], s[18:19], v[76:77]
	v_fma_f64 v[66:67], v[110:111], s[14:15], v[66:67]
	v_add_f64 v[60:61], v[60:61], v[52:53]
	v_fma_f64 v[76:77], v[114:115], s[0:1], v[76:77]
	v_fma_f64 v[66:67], v[114:115], s[0:1], v[66:67]
	v_add_f64 v[114:115], v[40:41], v[56:57]
	v_add_f64 v[40:41], v[40:41], -v[56:57]
	v_add_f64 v[60:61], v[60:61], v[56:57]
	v_fma_f64 v[44:45], v[114:115], -0.5, v[44:45]
	v_fma_f64 v[114:115], v[110:111], s[2:3], v[44:45]
	v_fma_f64 v[44:45], v[110:111], s[16:17], v[44:45]
	v_fma_f64 v[114:115], v[68:69], s[18:19], v[114:115]
	v_fma_f64 v[44:45], v[68:69], s[14:15], v[44:45]
	v_fma_f64 v[114:115], v[118:119], s[0:1], v[114:115]
	v_fma_f64 v[68:69], v[118:119], s[0:1], v[44:45]
	v_add_f64 v[44:45], v[46:47], v[42:43]
	v_add_f64 v[118:119], v[58:59], -v[54:55]
	v_add_f64 v[44:45], v[44:45], v[50:51]
	v_add_f64 v[44:45], v[44:45], v[54:55]
	;; [unrolled: 1-line block ×4, first 2 shown]
	v_fma_f64 v[44:45], v[44:45], -0.5, v[46:47]
	v_fma_f64 v[56:57], v[40:41], s[2:3], v[44:45]
	v_fma_f64 v[44:45], v[40:41], s[16:17], v[44:45]
	;; [unrolled: 1-line block ×3, first 2 shown]
	v_add_f64 v[56:57], v[42:43], -v[50:51]
	v_fma_f64 v[44:45], v[48:49], s[18:19], v[44:45]
	v_add_f64 v[56:57], v[56:57], v[118:119]
	v_fma_f64 v[135:136], v[56:57], s[0:1], v[44:45]
	v_add_f64 v[44:45], v[42:43], v[58:59]
	v_add_f64 v[42:43], v[50:51], -v[42:43]
	v_add_f64 v[50:51], v[54:55], -v[58:59]
	v_fma_f64 v[118:119], v[56:57], s[0:1], v[52:53]
	v_mul_f64 v[58:59], v[114:115], s[2:3]
	v_fma_f64 v[44:45], v[44:45], -0.5, v[46:47]
	v_add_f64 v[42:43], v[42:43], v[50:51]
	v_fma_f64 v[46:47], v[48:49], s[16:17], v[44:45]
	v_fma_f64 v[44:45], v[48:49], s[2:3], v[44:45]
	;; [unrolled: 1-line block ×6, first 2 shown]
	v_mul_f64 v[42:43], v[76:77], s[20:21]
	v_add_f64 v[40:41], v[72:73], v[60:61]
	v_mul_f64 v[46:47], v[76:77], s[14:15]
	v_add_f64 v[76:77], v[72:73], -v[60:61]
	v_fma_f64 v[139:140], v[118:119], s[18:19], v[42:43]
	v_mul_f64 v[42:43], v[50:51], s[16:17]
	v_fma_f64 v[118:119], v[118:119], s[20:21], v[46:47]
	v_add_f64 v[44:45], v[74:75], v[139:140]
	v_fma_f64 v[141:142], v[114:115], s[0:1], v[42:43]
	v_mul_f64 v[42:43], v[68:69], s[0:1]
	v_fma_f64 v[114:115], v[50:51], s[0:1], v[58:59]
	v_mul_f64 v[58:59], v[135:136], s[20:21]
	v_add_f64 v[46:47], v[108:109], v[118:119]
	v_add_f64 v[72:73], v[74:75], -v[139:140]
	v_add_f64 v[74:75], v[108:109], -v[118:119]
	;; [unrolled: 1-line block ×3, first 2 shown]
	v_add_f64 v[108:109], v[104:105], v[100:101]
	v_fma_f64 v[143:144], v[54:55], s[16:17], -v[42:43]
	v_mul_f64 v[42:43], v[66:67], s[20:21]
	v_mul_f64 v[54:55], v[54:55], s[0:1]
	v_add_f64 v[50:51], v[70:71], v[114:115]
	v_add_f64 v[70:71], v[70:71], -v[114:115]
	v_add_f64 v[114:115], v[102:103], -v[130:131]
	v_add_f64 v[48:49], v[137:138], v[141:142]
	v_add_f64 v[108:109], v[108:109], v[120:121]
	;; [unrolled: 1-line block ×3, first 2 shown]
	v_fma_f64 v[145:146], v[135:136], s[18:19], -v[42:43]
	v_add_f64 v[42:43], v[116:117], v[110:111]
	v_fma_f64 v[147:148], v[68:69], s[2:3], -v[54:55]
	v_fma_f64 v[135:136], v[66:67], s[14:15], -v[58:59]
	v_add_f64 v[68:69], v[137:138], -v[141:142]
	v_add_f64 v[137:138], v[124:125], -v[128:129]
	v_add_f64 v[108:109], v[108:109], v[124:125]
	v_add_f64 v[64:65], v[64:65], -v[143:144]
	v_add_f64 v[56:57], v[78:79], v[145:146]
	v_add_f64 v[60:61], v[78:79], -v[145:146]
	v_add_f64 v[78:79], v[116:117], -v[110:111]
	v_add_f64 v[110:111], v[120:121], v[124:125]
	v_add_f64 v[54:55], v[62:63], v[147:148]
	;; [unrolled: 1-line block ×3, first 2 shown]
	v_add_f64 v[66:67], v[62:63], -v[147:148]
	v_add_f64 v[62:63], v[112:113], -v[135:136]
	;; [unrolled: 1-line block ×4, first 2 shown]
	v_add_f64 v[108:109], v[108:109], v[128:129]
	v_fma_f64 v[112:113], v[110:111], -0.5, v[104:105]
	v_add_f64 v[118:119], v[118:119], v[135:136]
	v_add_f64 v[135:136], v[120:121], -v[100:101]
	v_fma_f64 v[110:111], v[114:115], s[16:17], v[112:113]
	v_fma_f64 v[112:113], v[114:115], s[2:3], v[112:113]
	v_add_f64 v[120:121], v[120:121], -v[124:125]
	v_add_f64 v[135:136], v[135:136], v[137:138]
	v_fma_f64 v[110:111], v[116:117], s[18:19], v[110:111]
	v_fma_f64 v[112:113], v[116:117], s[14:15], v[112:113]
	v_add_f64 v[137:138], v[80:81], -v[84:85]
	v_fma_f64 v[110:111], v[118:119], s[0:1], v[110:111]
	v_fma_f64 v[112:113], v[118:119], s[0:1], v[112:113]
	v_add_f64 v[118:119], v[100:101], v[128:129]
	v_add_f64 v[100:101], v[100:101], -v[128:129]
	v_fma_f64 v[104:105], v[118:119], -0.5, v[104:105]
	v_fma_f64 v[118:119], v[116:117], s[2:3], v[104:105]
	v_fma_f64 v[104:105], v[116:117], s[16:17], v[104:105]
	v_add_f64 v[116:117], v[122:123], v[126:127]
	v_fma_f64 v[118:119], v[114:115], s[18:19], v[118:119]
	v_fma_f64 v[104:105], v[114:115], s[14:15], v[104:105]
	v_fma_f64 v[116:117], v[116:117], -0.5, v[106:107]
	v_add_f64 v[114:115], v[106:107], v[102:103]
	v_fma_f64 v[118:119], v[135:136], s[0:1], v[118:119]
	v_fma_f64 v[104:105], v[135:136], s[0:1], v[104:105]
	;; [unrolled: 1-line block ×3, first 2 shown]
	v_add_f64 v[135:136], v[130:131], -v[126:127]
	v_add_f64 v[114:115], v[114:115], v[122:123]
	v_fma_f64 v[116:117], v[100:101], s[16:17], v[116:117]
	v_fma_f64 v[124:125], v[120:121], s[14:15], v[128:129]
	v_add_f64 v[128:129], v[102:103], -v[122:123]
	v_add_f64 v[114:115], v[114:115], v[126:127]
	v_fma_f64 v[116:117], v[120:121], s[18:19], v[116:117]
	v_add_f64 v[128:129], v[128:129], v[135:136]
	v_add_f64 v[114:115], v[114:115], v[130:131]
	v_fma_f64 v[135:136], v[128:129], s[0:1], v[124:125]
	v_add_f64 v[124:125], v[102:103], v[130:131]
	v_add_f64 v[102:103], v[122:123], -v[102:103]
	v_add_f64 v[122:123], v[126:127], -v[130:131]
	v_fma_f64 v[116:117], v[128:129], s[0:1], v[116:117]
	v_add_f64 v[126:127], v[88:89], -v[92:93]
	v_add_f64 v[130:131], v[84:85], -v[80:81]
	v_fma_f64 v[106:107], v[124:125], -0.5, v[106:107]
	v_add_f64 v[102:103], v[102:103], v[122:123]
	v_add_f64 v[126:127], v[126:127], v[130:131]
	v_add_f64 v[130:131], v[92:93], -v[88:89]
	v_fma_f64 v[124:125], v[120:121], s[16:17], v[106:107]
	v_fma_f64 v[106:107], v[120:121], s[2:3], v[106:107]
	v_add_f64 v[120:121], v[90:91], -v[86:87]
	v_add_f64 v[130:131], v[130:131], v[137:138]
	v_fma_f64 v[124:125], v[100:101], s[14:15], v[124:125]
	v_fma_f64 v[100:101], v[100:101], s[18:19], v[106:107]
	v_add_f64 v[106:107], v[92:93], v[80:81]
	v_fma_f64 v[128:129], v[102:103], s[0:1], v[124:125]
	v_add_f64 v[124:125], v[94:95], -v[82:83]
	v_fma_f64 v[106:107], v[106:107], -0.5, v[96:97]
	v_fma_f64 v[102:103], v[102:103], s[0:1], v[100:101]
	v_add_f64 v[100:101], v[96:97], v[88:89]
	v_fma_f64 v[122:123], v[120:121], s[16:17], v[106:107]
	v_fma_f64 v[106:107], v[120:121], s[2:3], v[106:107]
	v_add_f64 v[100:101], v[100:101], v[92:93]
	v_fma_f64 v[122:123], v[124:125], s[18:19], v[122:123]
	v_fma_f64 v[106:107], v[124:125], s[14:15], v[106:107]
	v_add_f64 v[100:101], v[100:101], v[80:81]
	v_add_f64 v[80:81], v[92:93], -v[80:81]
	v_add_f64 v[92:93], v[90:91], -v[94:95]
	v_fma_f64 v[122:123], v[126:127], s[0:1], v[122:123]
	v_fma_f64 v[106:107], v[126:127], s[0:1], v[106:107]
	v_add_f64 v[126:127], v[88:89], v[84:85]
	v_add_f64 v[100:101], v[100:101], v[84:85]
	v_add_f64 v[84:85], v[88:89], -v[84:85]
	v_fma_f64 v[96:97], v[126:127], -0.5, v[96:97]
	v_fma_f64 v[126:127], v[124:125], s[2:3], v[96:97]
	v_fma_f64 v[96:97], v[124:125], s[16:17], v[96:97]
	v_add_f64 v[124:125], v[86:87], -v[82:83]
	v_fma_f64 v[126:127], v[120:121], s[18:19], v[126:127]
	v_fma_f64 v[96:97], v[120:121], s[14:15], v[96:97]
	v_add_f64 v[92:93], v[92:93], v[124:125]
	v_fma_f64 v[126:127], v[130:131], s[0:1], v[126:127]
	v_fma_f64 v[120:121], v[130:131], s[0:1], v[96:97]
	v_add_f64 v[96:97], v[98:99], v[90:91]
	v_add_f64 v[96:97], v[96:97], v[94:95]
	;; [unrolled: 1-line block ×5, first 2 shown]
	v_add_f64 v[82:83], v[82:83], -v[86:87]
	v_fma_f64 v[96:97], v[96:97], -0.5, v[98:99]
	v_fma_f64 v[88:89], v[84:85], s[2:3], v[96:97]
	v_fma_f64 v[88:89], v[80:81], s[14:15], v[88:89]
	v_fma_f64 v[124:125], v[92:93], s[0:1], v[88:89]
	v_fma_f64 v[88:89], v[84:85], s[16:17], v[96:97]
	v_fma_f64 v[88:89], v[80:81], s[18:19], v[88:89]
	v_fma_f64 v[137:138], v[92:93], s[0:1], v[88:89]
	v_add_f64 v[88:89], v[90:91], v[86:87]
	v_add_f64 v[90:91], v[94:95], -v[90:91]
	v_mul_f64 v[94:95], v[126:127], s[2:3]
	v_add_f64 v[86:87], v[114:115], v[130:131]
	v_fma_f64 v[88:89], v[88:89], -0.5, v[98:99]
	v_add_f64 v[82:83], v[90:91], v[82:83]
	v_fma_f64 v[92:93], v[80:81], s[16:17], v[88:89]
	v_fma_f64 v[80:81], v[80:81], s[2:3], v[88:89]
	;; [unrolled: 1-line block ×4, first 2 shown]
	v_add_f64 v[84:85], v[108:109], v[100:101]
	v_fma_f64 v[90:91], v[82:83], s[0:1], v[92:93]
	v_fma_f64 v[98:99], v[82:83], s[0:1], v[80:81]
	v_mul_f64 v[80:81], v[122:123], s[20:21]
	v_mul_f64 v[82:83], v[90:91], s[16:17]
	v_fma_f64 v[147:148], v[90:91], s[0:1], v[94:95]
	v_fma_f64 v[139:140], v[124:125], s[18:19], v[80:81]
	v_mul_f64 v[90:91], v[98:99], s[0:1]
	v_fma_f64 v[141:142], v[126:127], s[0:1], v[82:83]
	v_mul_f64 v[82:83], v[120:121], s[0:1]
	v_add_f64 v[126:127], v[114:115], -v[130:131]
	v_fma_f64 v[149:150], v[120:121], s[2:3], -v[90:91]
	v_mul_f64 v[90:91], v[137:138], s[20:21]
	v_add_f64 v[114:115], v[30:31], -v[26:27]
	v_add_f64 v[80:81], v[110:111], v[139:140]
	v_add_f64 v[94:95], v[128:129], v[147:148]
	v_add_f64 v[92:93], v[118:119], v[141:142]
	v_fma_f64 v[143:144], v[98:99], s[16:17], -v[82:83]
	v_mul_f64 v[82:83], v[106:107], s[20:21]
	v_add_f64 v[98:99], v[102:103], v[149:150]
	v_add_f64 v[120:121], v[110:111], -v[139:140]
	v_add_f64 v[110:111], v[128:129], -v[147:148]
	;; [unrolled: 1-line block ×4, first 2 shown]
	v_add_f64 v[96:97], v[104:105], v[143:144]
	v_fma_f64 v[145:146], v[137:138], s[18:19], -v[82:83]
	v_mul_f64 v[82:83], v[122:123], s[14:15]
	v_fma_f64 v[137:138], v[106:107], s[14:15], -v[90:91]
	v_add_f64 v[106:107], v[102:103], -v[149:150]
	v_add_f64 v[104:105], v[104:105], -v[143:144]
	v_add_f64 v[88:89], v[112:113], v[145:146]
	v_fma_f64 v[122:123], v[124:125], s[20:21], v[82:83]
	v_add_f64 v[124:125], v[108:109], -v[100:101]
	v_add_f64 v[100:101], v[112:113], -v[145:146]
	v_add_f64 v[112:113], v[36:37], v[28:29]
	v_add_f64 v[90:91], v[116:117], v[137:138]
	v_add_f64 v[102:103], v[116:117], -v[137:138]
	v_add_f64 v[108:109], v[118:119], -v[141:142]
	;; [unrolled: 1-line block ×3, first 2 shown]
	v_add_f64 v[82:83], v[135:136], v[122:123]
	v_add_f64 v[122:123], v[135:136], -v[122:123]
	v_add_f64 v[135:136], v[24:25], -v[20:21]
	v_add_f64 v[112:113], v[112:113], v[32:33]
	v_add_f64 v[130:131], v[130:131], v[135:136]
	v_add_f64 v[112:113], v[112:113], v[20:21]
	v_add_f64 v[135:136], v[32:33], -v[28:29]
	v_add_f64 v[116:117], v[112:113], v[24:25]
	v_add_f64 v[112:113], v[32:33], v[20:21]
	;; [unrolled: 1-line block ×3, first 2 shown]
	v_add_f64 v[20:21], v[32:33], -v[20:21]
	v_add_f64 v[32:33], v[30:31], -v[34:35]
	v_fma_f64 v[112:113], v[112:113], -0.5, v[36:37]
	v_fma_f64 v[118:119], v[114:115], s[16:17], v[112:113]
	v_fma_f64 v[112:113], v[114:115], s[2:3], v[112:113]
	;; [unrolled: 1-line block ×6, first 2 shown]
	v_add_f64 v[112:113], v[28:29], v[24:25]
	v_add_f64 v[24:25], v[28:29], -v[24:25]
	v_fma_f64 v[36:37], v[112:113], -0.5, v[36:37]
	v_fma_f64 v[112:113], v[128:129], s[2:3], v[36:37]
	v_fma_f64 v[36:37], v[128:129], s[16:17], v[36:37]
	;; [unrolled: 1-line block ×6, first 2 shown]
	v_add_f64 v[36:37], v[38:39], v[30:31]
	v_add_f64 v[112:113], v[26:27], -v[22:23]
	v_add_f64 v[36:37], v[36:37], v[34:35]
	v_add_f64 v[32:33], v[32:33], v[112:113]
	v_add_f64 v[112:113], v[0:1], -v[4:5]
	v_add_f64 v[36:37], v[36:37], v[22:23]
	v_add_f64 v[135:136], v[36:37], v[26:27]
	;; [unrolled: 1-line block ×3, first 2 shown]
	v_add_f64 v[22:23], v[22:23], -v[26:27]
	v_fma_f64 v[36:37], v[36:37], -0.5, v[38:39]
	v_fma_f64 v[28:29], v[24:25], s[2:3], v[36:37]
	v_fma_f64 v[28:29], v[20:21], s[14:15], v[28:29]
	;; [unrolled: 1-line block ×6, first 2 shown]
	v_add_f64 v[28:29], v[30:31], v[26:27]
	v_add_f64 v[30:31], v[34:35], -v[30:31]
	v_add_f64 v[34:35], v[14:15], -v[2:3]
	v_fma_f64 v[28:29], v[28:29], -0.5, v[38:39]
	v_add_f64 v[22:23], v[30:31], v[22:23]
	v_add_f64 v[38:39], v[4:5], -v[0:1]
	v_fma_f64 v[36:37], v[20:21], s[16:17], v[28:29]
	v_fma_f64 v[20:21], v[20:21], s[2:3], v[28:29]
	;; [unrolled: 1-line block ×4, first 2 shown]
	v_add_f64 v[24:25], v[10:11], -v[6:7]
	v_fma_f64 v[26:27], v[22:23], s[0:1], v[36:37]
	v_fma_f64 v[30:31], v[22:23], s[0:1], v[20:21]
	v_add_f64 v[22:23], v[12:13], v[0:1]
	v_add_f64 v[36:37], v[8:9], -v[12:13]
	v_add_f64 v[20:21], v[16:17], v[8:9]
	v_fma_f64 v[22:23], v[22:23], -0.5, v[16:17]
	v_add_f64 v[36:37], v[36:37], v[38:39]
	v_add_f64 v[38:39], v[12:13], -v[8:9]
	v_add_f64 v[20:21], v[20:21], v[12:13]
	v_fma_f64 v[28:29], v[24:25], s[16:17], v[22:23]
	v_fma_f64 v[22:23], v[24:25], s[2:3], v[22:23]
	v_add_f64 v[38:39], v[38:39], v[112:113]
	v_add_f64 v[20:21], v[20:21], v[0:1]
	v_add_f64 v[0:1], v[12:13], -v[0:1]
	v_add_f64 v[12:13], v[10:11], -v[14:15]
	v_fma_f64 v[28:29], v[34:35], s[18:19], v[28:29]
	v_fma_f64 v[22:23], v[34:35], s[14:15], v[22:23]
	v_add_f64 v[20:21], v[20:21], v[4:5]
	v_fma_f64 v[28:29], v[36:37], s[0:1], v[28:29]
	v_fma_f64 v[22:23], v[36:37], s[0:1], v[22:23]
	v_add_f64 v[36:37], v[8:9], v[4:5]
	v_add_f64 v[4:5], v[8:9], -v[4:5]
	v_fma_f64 v[16:17], v[36:37], -0.5, v[16:17]
	v_fma_f64 v[36:37], v[34:35], s[2:3], v[16:17]
	v_fma_f64 v[16:17], v[34:35], s[16:17], v[16:17]
	v_add_f64 v[34:35], v[6:7], -v[2:3]
	v_fma_f64 v[36:37], v[24:25], s[18:19], v[36:37]
	v_fma_f64 v[16:17], v[24:25], s[14:15], v[16:17]
	v_add_f64 v[24:25], v[18:19], v[10:11]
	v_add_f64 v[12:13], v[12:13], v[34:35]
	v_fma_f64 v[36:37], v[38:39], s[0:1], v[36:37]
	v_fma_f64 v[16:17], v[38:39], s[0:1], v[16:17]
	v_add_f64 v[24:25], v[24:25], v[14:15]
	v_add_f64 v[24:25], v[24:25], v[2:3]
	;; [unrolled: 1-line block ×4, first 2 shown]
	v_add_f64 v[2:3], v[2:3], -v[6:7]
	v_fma_f64 v[24:25], v[24:25], -0.5, v[18:19]
	v_fma_f64 v[8:9], v[4:5], s[2:3], v[24:25]
	v_fma_f64 v[8:9], v[0:1], s[14:15], v[8:9]
	;; [unrolled: 1-line block ×6, first 2 shown]
	v_add_f64 v[8:9], v[10:11], v[6:7]
	v_add_f64 v[10:11], v[14:15], -v[10:11]
	v_mul_f64 v[14:15], v[28:29], s[14:15]
	v_fma_f64 v[8:9], v[8:9], -0.5, v[18:19]
	v_add_f64 v[2:3], v[10:11], v[2:3]
	v_fma_f64 v[145:146], v[114:115], s[20:21], v[14:15]
	v_add_f64 v[10:11], v[135:136], v[38:39]
	v_fma_f64 v[12:13], v[0:1], s[16:17], v[8:9]
	v_fma_f64 v[0:1], v[0:1], s[2:3], v[8:9]
	v_add_f64 v[8:9], v[116:117], v[20:21]
	v_add_f64 v[14:15], v[139:140], v[145:146]
	v_fma_f64 v[12:13], v[4:5], s[14:15], v[12:13]
	v_fma_f64 v[0:1], v[4:5], s[18:19], v[0:1]
	;; [unrolled: 1-line block ×4, first 2 shown]
	v_mul_f64 v[0:1], v[28:29], s[20:21]
	v_mul_f64 v[28:29], v[36:37], s[2:3]
	v_fma_f64 v[4:5], v[114:115], s[18:19], v[0:1]
	v_mul_f64 v[0:1], v[6:7], s[16:17]
	v_fma_f64 v[6:7], v[6:7], s[0:1], v[28:29]
	v_add_f64 v[12:13], v[118:119], v[4:5]
	v_fma_f64 v[18:19], v[36:37], s[0:1], v[0:1]
	v_mul_f64 v[0:1], v[16:17], s[0:1]
	v_add_f64 v[36:37], v[26:27], v[6:7]
	v_add_f64 v[26:27], v[26:27], -v[6:7]
	v_add_f64 v[34:35], v[137:138], v[18:19]
	v_fma_f64 v[141:142], v[2:3], s[16:17], -v[0:1]
	v_mul_f64 v[2:3], v[2:3], s[0:1]
	v_mul_f64 v[0:1], v[22:23], s[20:21]
	v_add_f64 v[112:113], v[128:129], v[141:142]
	v_fma_f64 v[147:148], v[16:17], s[2:3], -v[2:3]
	v_mul_f64 v[2:3], v[24:25], s[20:21]
	v_fma_f64 v[143:144], v[24:25], s[18:19], -v[0:1]
	v_add_f64 v[16:17], v[116:117], -v[20:21]
	v_add_f64 v[24:25], v[137:138], -v[18:19]
	;; [unrolled: 1-line block ×5, first 2 shown]
	v_add_f64 v[114:115], v[30:31], v[147:148]
	v_fma_f64 v[149:150], v[22:23], s[14:15], -v[2:3]
	v_add_f64 v[0:1], v[130:131], v[143:144]
	v_add_f64 v[22:23], v[139:140], -v[145:146]
	v_add_f64 v[4:5], v[130:131], -v[143:144]
	;; [unrolled: 1-line block ×3, first 2 shown]
	v_add_f64 v[2:3], v[32:33], v[149:150]
	v_add_f64 v[6:7], v[32:33], -v[149:150]
	v_mul_u32_u24_e32 v32, 10, v186
	v_add_lshl_u32 v188, v151, v32, 4
	v_mul_u32_u24_e32 v32, 10, v134
	v_add_lshl_u32 v189, v151, v32, 4
	;; [unrolled: 2-line block ×3, first 2 shown]
	ds_write_b128 v188, v[40:43]
	ds_write_b128 v188, v[44:47] offset:16
	ds_write_b128 v188, v[48:51] offset:32
	;; [unrolled: 1-line block ×9, first 2 shown]
	ds_write_b128 v189, v[84:87]
	ds_write_b128 v189, v[80:83] offset:16
	ds_write_b128 v189, v[92:95] offset:32
	ds_write_b128 v189, v[96:99] offset:48
	ds_write_b128 v189, v[88:91] offset:64
	ds_write_b128 v189, v[124:127] offset:80
	ds_write_b128 v189, v[120:123] offset:96
	ds_write_b128 v189, v[108:111] offset:112
	ds_write_b128 v189, v[104:107] offset:128
	ds_write_b128 v189, v[100:103] offset:144
	buffer_store_dword v151, off, s[24:27], 0 ; 4-byte Folded Spill
	ds_write_b128 v190, v[8:11]
	ds_write_b128 v190, v[12:15] offset:16
	ds_write_b128 v190, v[34:37] offset:32
	;; [unrolled: 1-line block ×9, first 2 shown]
	s_waitcnt lgkmcnt(0)
	; wave barrier
	s_waitcnt lgkmcnt(0)
	ds_read_b128 v[32:35], v240
	ds_read_b128 v[124:127], v196 offset:960
	ds_read_b128 v[120:123], v196 offset:1920
	ds_read_b128 v[116:119], v196 offset:2880
	ds_read_b128 v[112:115], v196 offset:3840
	ds_read_b128 v[108:111], v196 offset:4800
	ds_read_b128 v[104:107], v196 offset:5760
	ds_read_b128 v[100:103], v196 offset:6720
	ds_read_b128 v[12:15], v196 offset:256
	ds_read_b128 v[96:99], v196 offset:1216
	ds_read_b128 v[92:95], v196 offset:2176
	ds_read_b128 v[88:91], v196 offset:3136
	ds_read_b128 v[84:87], v196 offset:4096
	ds_read_b128 v[80:83], v196 offset:5056
	ds_read_b128 v[76:79], v196 offset:6016
	ds_read_b128 v[72:75], v196 offset:6976
	ds_read_b128 v[8:11], v196 offset:512
	ds_read_b128 v[68:71], v196 offset:1472
	ds_read_b128 v[64:67], v196 offset:2432
	ds_read_b128 v[60:63], v196 offset:3392
	ds_read_b128 v[56:59], v196 offset:4352
	ds_read_b128 v[52:55], v196 offset:5312
	ds_read_b128 v[48:51], v196 offset:6272
	ds_read_b128 v[44:47], v196 offset:7232
                                        ; implicit-def: $vgpr40_vgpr41
                                        ; implicit-def: $vgpr36_vgpr37
	s_and_saveexec_b64 s[0:1], vcc
	s_cbranch_execz .LBB0_3
; %bb.2:
	ds_read_b128 v[0:3], v196 offset:768
	ds_read_b128 v[16:19], v196 offset:1728
	;; [unrolled: 1-line block ×8, first 2 shown]
.LBB0_3:
	s_or_b64 exec, exec, s[0:1]
	v_add_u32_e32 v128, -10, v186
	v_cmp_gt_u32_e64 s[0:1], 10, v186
	v_cndmask_b32_e64 v191, v128, v186, s[0:1]
	v_mul_i32_i24_e32 v129, 0x70, v191
	v_mul_hi_i32_i24_e32 v128, 0x70, v191
	v_add_co_u32_e64 v130, s[0:1], s10, v129
	v_mov_b32_e32 v129, s11
	v_addc_co_u32_e64 v131, s[0:1], v129, v128, s[0:1]
	global_load_dwordx4 v[135:138], v[130:131], off offset:48
	global_load_dwordx4 v[139:142], v[130:131], off offset:32
	global_load_dwordx4 v[143:146], v[130:131], off offset:16
	global_load_dwordx4 v[147:150], v[130:131], off
	v_mul_lo_u16_e32 v192, 26, v134
	v_mov_b32_e32 v160, 10
	v_mov_b32_e32 v159, s11
	s_movk_i32 s2, 0x70
	v_mov_b32_e32 v158, s10
	v_mul_lo_u16_e32 v194, 26, v157
	s_mov_b32 s15, 0x3fe6a09e
	s_movk_i32 s16, 0x50
	s_waitcnt vmcnt(0) lgkmcnt(14)
	v_mul_f64 v[128:129], v[126:127], v[149:150]
	v_fma_f64 v[128:129], v[124:125], v[147:148], -v[128:129]
	v_mul_f64 v[124:125], v[124:125], v[149:150]
	buffer_store_dword v147, off, s[24:27], 0 offset:656 ; 4-byte Folded Spill
	s_nop 0
	buffer_store_dword v148, off, s[24:27], 0 offset:660 ; 4-byte Folded Spill
	buffer_store_dword v149, off, s[24:27], 0 offset:664 ; 4-byte Folded Spill
	buffer_store_dword v150, off, s[24:27], 0 offset:668 ; 4-byte Folded Spill
	v_fma_f64 v[124:125], v[126:127], v[147:148], v[124:125]
	v_mul_f64 v[126:127], v[122:123], v[145:146]
	v_fma_f64 v[126:127], v[120:121], v[143:144], -v[126:127]
	v_mul_f64 v[120:121], v[120:121], v[145:146]
	buffer_store_dword v143, off, s[24:27], 0 offset:640 ; 4-byte Folded Spill
	s_nop 0
	buffer_store_dword v144, off, s[24:27], 0 offset:644 ; 4-byte Folded Spill
	buffer_store_dword v145, off, s[24:27], 0 offset:648 ; 4-byte Folded Spill
	buffer_store_dword v146, off, s[24:27], 0 offset:652 ; 4-byte Folded Spill
	v_fma_f64 v[122:123], v[122:123], v[143:144], v[120:121]
	;; [unrolled: 9-line block ×4, first 2 shown]
	global_load_dwordx4 v[135:138], v[130:131], off offset:96
	global_load_dwordx4 v[145:148], v[130:131], off offset:80
	;; [unrolled: 1-line block ×3, first 2 shown]
	s_waitcnt vmcnt(0)
	v_mul_f64 v[114:115], v[110:111], v[151:152]
	v_fma_f64 v[141:142], v[108:109], v[149:150], -v[114:115]
	v_mul_f64 v[108:109], v[108:109], v[151:152]
	buffer_store_dword v149, off, s[24:27], 0 offset:704 ; 4-byte Folded Spill
	s_nop 0
	buffer_store_dword v150, off, s[24:27], 0 offset:708 ; 4-byte Folded Spill
	buffer_store_dword v151, off, s[24:27], 0 offset:712 ; 4-byte Folded Spill
	buffer_store_dword v152, off, s[24:27], 0 offset:716 ; 4-byte Folded Spill
	v_fma_f64 v[143:144], v[110:111], v[149:150], v[108:109]
	v_mul_f64 v[108:109], v[106:107], v[147:148]
	v_fma_f64 v[155:156], v[104:105], v[145:146], -v[108:109]
	v_mul_f64 v[104:105], v[104:105], v[147:148]
	buffer_store_dword v145, off, s[24:27], 0 offset:688 ; 4-byte Folded Spill
	s_nop 0
	buffer_store_dword v146, off, s[24:27], 0 offset:692 ; 4-byte Folded Spill
	buffer_store_dword v147, off, s[24:27], 0 offset:696 ; 4-byte Folded Spill
	buffer_store_dword v148, off, s[24:27], 0 offset:700 ; 4-byte Folded Spill
	v_fma_f64 v[153:154], v[106:107], v[145:146], v[104:105]
	;; [unrolled: 9-line block ×3, first 2 shown]
	v_mul_lo_u16_sdwa v100, v192, v160 dst_sel:DWORD dst_unused:UNUSED_PAD src0_sel:BYTE_1 src1_sel:DWORD
	v_sub_u16_e32 v193, v134, v100
	v_and_b32_e32 v100, 0xff, v193
	v_mad_u64_u32 v[102:103], s[0:1], v100, s2, v[158:159]
	global_load_dwordx4 v[104:107], v[102:103], off offset:48
	global_load_dwordx4 v[108:111], v[102:103], off offset:32
	;; [unrolled: 1-line block ×3, first 2 shown]
	global_load_dwordx4 v[137:140], v[102:103], off
	s_waitcnt vmcnt(0)
	v_mul_f64 v[100:101], v[98:99], v[139:140]
	v_fma_f64 v[100:101], v[96:97], v[137:138], -v[100:101]
	v_mul_f64 v[96:97], v[96:97], v[139:140]
	buffer_store_dword v137, off, s[24:27], 0 offset:784 ; 4-byte Folded Spill
	s_nop 0
	buffer_store_dword v138, off, s[24:27], 0 offset:788 ; 4-byte Folded Spill
	buffer_store_dword v139, off, s[24:27], 0 offset:792 ; 4-byte Folded Spill
	buffer_store_dword v140, off, s[24:27], 0 offset:796 ; 4-byte Folded Spill
	v_fma_f64 v[96:97], v[98:99], v[137:138], v[96:97]
	s_waitcnt lgkmcnt(13)
	v_mul_f64 v[98:99], v[94:95], v[135:136]
	v_fma_f64 v[98:99], v[92:93], v[133:134], -v[98:99]
	v_mul_f64 v[92:93], v[92:93], v[135:136]
	buffer_store_dword v133, off, s[24:27], 0 offset:768 ; 4-byte Folded Spill
	s_nop 0
	buffer_store_dword v134, off, s[24:27], 0 offset:772 ; 4-byte Folded Spill
	buffer_store_dword v135, off, s[24:27], 0 offset:776 ; 4-byte Folded Spill
	buffer_store_dword v136, off, s[24:27], 0 offset:780 ; 4-byte Folded Spill
	v_fma_f64 v[94:95], v[94:95], v[133:134], v[92:93]
	s_waitcnt lgkmcnt(12)
	;; [unrolled: 10-line block ×3, first 2 shown]
	v_mul_f64 v[90:91], v[86:87], v[106:107]
	v_fma_f64 v[90:91], v[84:85], v[104:105], -v[90:91]
	v_mul_f64 v[84:85], v[84:85], v[106:107]
	buffer_store_dword v104, off, s[24:27], 0 offset:672 ; 4-byte Folded Spill
	s_nop 0
	buffer_store_dword v105, off, s[24:27], 0 offset:676 ; 4-byte Folded Spill
	buffer_store_dword v106, off, s[24:27], 0 offset:680 ; 4-byte Folded Spill
	;; [unrolled: 1-line block ×3, first 2 shown]
	v_fma_f64 v[84:85], v[86:87], v[104:105], v[84:85]
	global_load_dwordx4 v[104:107], v[102:103], off offset:96
	global_load_dwordx4 v[108:111], v[102:103], off offset:80
	global_load_dwordx4 v[135:138], v[102:103], off offset:64
	s_waitcnt vmcnt(0) lgkmcnt(10)
	v_mul_f64 v[86:87], v[82:83], v[137:138]
	v_fma_f64 v[133:134], v[80:81], v[135:136], -v[86:87]
	v_mul_f64 v[80:81], v[80:81], v[137:138]
	buffer_store_dword v135, off, s[24:27], 0 offset:800 ; 4-byte Folded Spill
	s_nop 0
	buffer_store_dword v136, off, s[24:27], 0 offset:804 ; 4-byte Folded Spill
	buffer_store_dword v137, off, s[24:27], 0 offset:808 ; 4-byte Folded Spill
	;; [unrolled: 1-line block ×3, first 2 shown]
	v_fma_f64 v[137:138], v[82:83], v[135:136], v[80:81]
	s_waitcnt lgkmcnt(9)
	v_mul_f64 v[80:81], v[78:79], v[110:111]
	v_fma_f64 v[151:152], v[76:77], v[108:109], -v[80:81]
	v_mul_f64 v[76:77], v[76:77], v[110:111]
	buffer_store_dword v108, off, s[24:27], 0 offset:752 ; 4-byte Folded Spill
	s_nop 0
	buffer_store_dword v109, off, s[24:27], 0 offset:756 ; 4-byte Folded Spill
	buffer_store_dword v110, off, s[24:27], 0 offset:760 ; 4-byte Folded Spill
	buffer_store_dword v111, off, s[24:27], 0 offset:764 ; 4-byte Folded Spill
	v_fma_f64 v[149:150], v[78:79], v[108:109], v[76:77]
	s_waitcnt lgkmcnt(8)
	v_mul_f64 v[76:77], v[74:75], v[106:107]
	v_fma_f64 v[135:136], v[72:73], v[104:105], -v[76:77]
	v_mul_f64 v[72:73], v[72:73], v[106:107]
	buffer_store_dword v104, off, s[24:27], 0 offset:720 ; 4-byte Folded Spill
	s_nop 0
	buffer_store_dword v105, off, s[24:27], 0 offset:724 ; 4-byte Folded Spill
	buffer_store_dword v106, off, s[24:27], 0 offset:728 ; 4-byte Folded Spill
	buffer_store_dword v107, off, s[24:27], 0 offset:732 ; 4-byte Folded Spill
	v_fma_f64 v[139:140], v[74:75], v[104:105], v[72:73]
	v_mul_lo_u16_sdwa v72, v194, v160 dst_sel:DWORD dst_unused:UNUSED_PAD src0_sel:BYTE_1 src1_sel:DWORD
	v_sub_u16_e32 v72, v157, v72
	v_and_b32_e32 v195, 0xff, v72
	v_mad_u64_u32 v[86:87], s[0:1], v195, s2, v[158:159]
	global_load_dwordx4 v[102:105], v[86:87], off offset:48
	global_load_dwordx4 v[106:109], v[86:87], off offset:32
	;; [unrolled: 1-line block ×3, first 2 shown]
	global_load_dwordx4 v[74:77], v[86:87], off
	s_waitcnt vmcnt(0) lgkmcnt(6)
	v_mul_f64 v[72:73], v[70:71], v[76:77]
	v_fma_f64 v[72:73], v[68:69], v[74:75], -v[72:73]
	v_mul_f64 v[68:69], v[68:69], v[76:77]
	buffer_store_dword v74, off, s[24:27], 0 offset:912 ; 4-byte Folded Spill
	s_nop 0
	buffer_store_dword v75, off, s[24:27], 0 offset:916 ; 4-byte Folded Spill
	buffer_store_dword v76, off, s[24:27], 0 offset:920 ; 4-byte Folded Spill
	buffer_store_dword v77, off, s[24:27], 0 offset:924 ; 4-byte Folded Spill
	v_fma_f64 v[76:77], v[70:71], v[74:75], v[68:69]
	s_waitcnt lgkmcnt(5)
	v_mul_f64 v[68:69], v[66:67], v[163:164]
	v_fma_f64 v[80:81], v[64:65], v[161:162], -v[68:69]
	v_mul_f64 v[64:65], v[64:65], v[163:164]
	buffer_store_dword v161, off, s[24:27], 0 offset:880 ; 4-byte Folded Spill
	s_nop 0
	buffer_store_dword v162, off, s[24:27], 0 offset:884 ; 4-byte Folded Spill
	buffer_store_dword v163, off, s[24:27], 0 offset:888 ; 4-byte Folded Spill
	buffer_store_dword v164, off, s[24:27], 0 offset:892 ; 4-byte Folded Spill
	v_fma_f64 v[82:83], v[66:67], v[161:162], v[64:65]
	s_waitcnt lgkmcnt(4)
	;; [unrolled: 10-line block ×3, first 2 shown]
	v_mul_f64 v[60:61], v[58:59], v[104:105]
	v_fma_f64 v[108:109], v[56:57], v[102:103], -v[60:61]
	v_mul_f64 v[56:57], v[56:57], v[104:105]
	buffer_store_dword v102, off, s[24:27], 0 offset:816 ; 4-byte Folded Spill
	s_nop 0
	buffer_store_dword v103, off, s[24:27], 0 offset:820 ; 4-byte Folded Spill
	buffer_store_dword v104, off, s[24:27], 0 offset:824 ; 4-byte Folded Spill
	;; [unrolled: 1-line block ×3, first 2 shown]
	v_fma_f64 v[110:111], v[58:59], v[102:103], v[56:57]
	global_load_dwordx4 v[58:61], v[86:87], off offset:96
	global_load_dwordx4 v[62:65], v[86:87], off offset:80
	;; [unrolled: 1-line block ×3, first 2 shown]
	s_waitcnt vmcnt(0) lgkmcnt(2)
	v_mul_f64 v[56:57], v[54:55], v[68:69]
	v_fma_f64 v[86:87], v[52:53], v[66:67], -v[56:57]
	v_mul_f64 v[52:53], v[52:53], v[68:69]
	buffer_store_dword v66, off, s[24:27], 0 offset:896 ; 4-byte Folded Spill
	s_nop 0
	buffer_store_dword v67, off, s[24:27], 0 offset:900 ; 4-byte Folded Spill
	buffer_store_dword v68, off, s[24:27], 0 offset:904 ; 4-byte Folded Spill
	;; [unrolled: 1-line block ×3, first 2 shown]
	v_add_f64 v[86:87], v[72:73], -v[86:87]
	v_fma_f64 v[72:73], v[72:73], 2.0, -v[86:87]
	v_fma_f64 v[104:105], v[54:55], v[66:67], v[52:53]
	s_waitcnt lgkmcnt(1)
	v_mul_f64 v[52:53], v[50:51], v[64:65]
	v_add_f64 v[66:67], v[88:89], -v[139:140]
	v_fma_f64 v[130:131], v[48:49], v[62:63], -v[52:53]
	v_mul_f64 v[48:49], v[48:49], v[64:65]
	buffer_store_dword v62, off, s[24:27], 0 offset:864 ; 4-byte Folded Spill
	s_nop 0
	buffer_store_dword v63, off, s[24:27], 0 offset:868 ; 4-byte Folded Spill
	buffer_store_dword v64, off, s[24:27], 0 offset:872 ; 4-byte Folded Spill
	;; [unrolled: 1-line block ×3, first 2 shown]
	v_add_f64 v[64:65], v[92:93], -v[135:136]
	v_fma_f64 v[70:71], v[88:89], 2.0, -v[66:67]
	v_fma_f64 v[68:69], v[92:93], 2.0, -v[64:65]
	v_fma_f64 v[114:115], v[50:51], v[62:63], v[48:49]
	s_waitcnt lgkmcnt(0)
	v_mul_f64 v[48:49], v[46:47], v[60:61]
	v_fma_f64 v[102:103], v[44:45], v[58:59], -v[48:49]
	v_mul_f64 v[44:45], v[44:45], v[60:61]
	buffer_store_dword v58, off, s[24:27], 0 offset:832 ; 4-byte Folded Spill
	s_nop 0
	buffer_store_dword v59, off, s[24:27], 0 offset:836 ; 4-byte Folded Spill
	buffer_store_dword v60, off, s[24:27], 0 offset:840 ; 4-byte Folded Spill
	;; [unrolled: 1-line block ×3, first 2 shown]
	v_fma_f64 v[106:107], v[46:47], v[58:59], v[44:45]
	v_mul_lo_u16_e32 v44, 26, v132
	buffer_store_dword v44, off, s[24:27], 0 offset:584 ; 4-byte Folded Spill
	v_mul_lo_u16_sdwa v44, v44, v160 dst_sel:DWORD dst_unused:UNUSED_PAD src0_sel:BYTE_1 src1_sel:DWORD
	v_sub_u16_e32 v44, v132, v44
	v_and_b32_e32 v44, 0xff, v44
	buffer_store_dword v44, off, s[24:27], 0 offset:588 ; 4-byte Folded Spill
	v_mad_u64_u32 v[44:45], s[0:1], v44, s2, v[158:159]
	global_load_dwordx4 v[48:51], v[44:45], off offset:48
	global_load_dwordx4 v[52:55], v[44:45], off offset:32
	;; [unrolled: 1-line block ×3, first 2 shown]
	global_load_dwordx4 v[60:63], v[44:45], off
	s_mov_b32 s2, 0x667f3bcd
	s_mov_b32 s3, 0xbfe6a09e
	;; [unrolled: 1-line block ×3, first 2 shown]
	v_cmp_lt_u32_e64 s[0:1], 9, v186
	s_waitcnt vmcnt(0)
	v_mul_f64 v[46:47], v[18:19], v[62:63]
	v_fma_f64 v[157:158], v[16:17], v[60:61], -v[46:47]
	v_mul_f64 v[16:17], v[16:17], v[62:63]
	buffer_store_dword v60, off, s[24:27], 0 offset:1048 ; 4-byte Folded Spill
	s_nop 0
	buffer_store_dword v61, off, s[24:27], 0 offset:1052 ; 4-byte Folded Spill
	buffer_store_dword v62, off, s[24:27], 0 offset:1056 ; 4-byte Folded Spill
	;; [unrolled: 1-line block ×3, first 2 shown]
	v_fma_f64 v[159:160], v[18:19], v[60:61], v[16:17]
	v_mul_f64 v[16:17], v[22:23], v[58:59]
	v_fma_f64 v[163:164], v[20:21], v[56:57], -v[16:17]
	v_mul_f64 v[16:17], v[20:21], v[58:59]
	buffer_store_dword v56, off, s[24:27], 0 offset:1032 ; 4-byte Folded Spill
	s_nop 0
	buffer_store_dword v57, off, s[24:27], 0 offset:1036 ; 4-byte Folded Spill
	buffer_store_dword v58, off, s[24:27], 0 offset:1040 ; 4-byte Folded Spill
	;; [unrolled: 1-line block ×3, first 2 shown]
	v_add_f64 v[58:59], v[96:97], -v[137:138]
	v_add_f64 v[64:65], v[58:59], v[64:65]
	v_fma_f64 v[62:63], v[96:97], 2.0, -v[58:59]
	v_add_f64 v[96:97], v[74:75], -v[102:103]
	v_add_f64 v[70:71], v[62:63], -v[70:71]
	v_fma_f64 v[74:75], v[74:75], 2.0, -v[96:97]
	v_add_f64 v[74:75], v[72:73], -v[74:75]
	v_fma_f64 v[72:73], v[72:73], 2.0, -v[74:75]
	v_fma_f64 v[167:168], v[22:23], v[56:57], v[16:17]
	v_mul_f64 v[16:17], v[26:27], v[54:55]
	v_add_f64 v[56:57], v[100:101], -v[133:134]
	v_fma_f64 v[161:162], v[24:25], v[52:53], -v[16:17]
	v_mul_f64 v[16:17], v[24:25], v[54:55]
	buffer_store_dword v52, off, s[24:27], 0 offset:1016 ; 4-byte Folded Spill
	s_nop 0
	buffer_store_dword v53, off, s[24:27], 0 offset:1020 ; 4-byte Folded Spill
	buffer_store_dword v54, off, s[24:27], 0 offset:1024 ; 4-byte Folded Spill
	;; [unrolled: 1-line block ×3, first 2 shown]
	v_add_f64 v[66:67], v[56:57], -v[66:67]
	v_fma_f64 v[60:61], v[100:101], 2.0, -v[56:57]
	v_add_f64 v[68:69], v[60:61], -v[68:69]
	v_fma_f64 v[165:166], v[26:27], v[52:53], v[16:17]
	v_mul_f64 v[16:17], v[30:31], v[50:51]
	v_fma_f64 v[169:170], v[28:29], v[48:49], -v[16:17]
	v_mul_f64 v[16:17], v[28:29], v[50:51]
	buffer_store_dword v48, off, s[24:27], 0 offset:1000 ; 4-byte Folded Spill
	s_nop 0
	buffer_store_dword v49, off, s[24:27], 0 offset:1004 ; 4-byte Folded Spill
	buffer_store_dword v50, off, s[24:27], 0 offset:1008 ; 4-byte Folded Spill
	;; [unrolled: 1-line block ×3, first 2 shown]
	global_load_dwordx4 v[18:21], v[44:45], off offset:96
	global_load_dwordx4 v[22:25], v[44:45], off offset:80
	;; [unrolled: 1-line block ×3, first 2 shown]
	v_fma_f64 v[171:172], v[30:31], v[48:49], v[16:17]
	v_add_f64 v[30:31], v[124:125], -v[143:144]
	s_waitcnt vmcnt(0)
	v_mul_f64 v[16:17], v[6:7], v[28:29]
	v_fma_f64 v[174:175], v[4:5], v[26:27], -v[16:17]
	v_mul_f64 v[4:5], v[4:5], v[28:29]
	buffer_store_dword v26, off, s[24:27], 0 offset:1096 ; 4-byte Folded Spill
	s_nop 0
	buffer_store_dword v27, off, s[24:27], 0 offset:1100 ; 4-byte Folded Spill
	buffer_store_dword v28, off, s[24:27], 0 offset:1104 ; 4-byte Folded Spill
	;; [unrolled: 1-line block ×3, first 2 shown]
	v_add_f64 v[28:29], v[128:129], -v[141:142]
	v_fma_f64 v[176:177], v[6:7], v[26:27], v[4:5]
	v_mul_f64 v[4:5], v[38:39], v[24:25]
	v_add_f64 v[6:7], v[34:35], -v[112:113]
	v_fma_f64 v[178:179], v[36:37], v[22:23], -v[4:5]
	v_mul_f64 v[4:5], v[36:37], v[24:25]
	buffer_store_dword v22, off, s[24:27], 0 offset:1080 ; 4-byte Folded Spill
	s_nop 0
	buffer_store_dword v23, off, s[24:27], 0 offset:1084 ; 4-byte Folded Spill
	buffer_store_dword v24, off, s[24:27], 0 offset:1088 ; 4-byte Folded Spill
	;; [unrolled: 1-line block ×3, first 2 shown]
	v_add_f64 v[36:37], v[120:121], -v[145:146]
	v_fma_f64 v[180:181], v[38:39], v[22:23], v[4:5]
	v_mul_f64 v[4:5], v[42:43], v[20:21]
	v_add_f64 v[22:23], v[122:123], -v[153:154]
	v_add_f64 v[38:39], v[116:117], -v[147:148]
	v_fma_f64 v[182:183], v[40:41], v[18:19], -v[4:5]
	v_mul_f64 v[4:5], v[40:41], v[20:21]
	buffer_store_dword v18, off, s[24:27], 0 offset:1064 ; 4-byte Folded Spill
	s_nop 0
	buffer_store_dword v19, off, s[24:27], 0 offset:1068 ; 4-byte Folded Spill
	buffer_store_dword v20, off, s[24:27], 0 offset:1072 ; 4-byte Folded Spill
	;; [unrolled: 1-line block ×3, first 2 shown]
	v_add_f64 v[20:21], v[126:127], -v[155:156]
	v_fma_f64 v[26:27], v[122:123], 2.0, -v[22:23]
	v_fma_f64 v[40:41], v[120:121], 2.0, -v[36:37]
	v_add_f64 v[36:37], v[30:31], v[36:37]
	v_fma_f64 v[24:25], v[126:127], 2.0, -v[20:21]
	v_add_f64 v[46:47], v[6:7], v[20:21]
	v_fma_f64 v[184:185], v[42:43], v[18:19], v[4:5]
	v_add_f64 v[4:5], v[32:33], -v[118:119]
	v_fma_f64 v[18:19], v[34:35], 2.0, -v[6:7]
	v_fma_f64 v[34:35], v[124:125], 2.0, -v[30:31]
	;; [unrolled: 1-line block ×3, first 2 shown]
	v_add_f64 v[38:39], v[28:29], -v[38:39]
	v_fma_f64 v[30:31], v[30:31], 2.0, -v[36:37]
	v_fma_f64 v[16:17], v[32:33], 2.0, -v[4:5]
	;; [unrolled: 1-line block ×3, first 2 shown]
	v_add_f64 v[26:27], v[18:19], -v[26:27]
	v_add_f64 v[44:45], v[4:5], -v[22:23]
	;; [unrolled: 1-line block ×3, first 2 shown]
	v_fma_f64 v[22:23], v[6:7], 2.0, -v[46:47]
	v_fma_f64 v[28:29], v[28:29], 2.0, -v[38:39]
	v_add_f64 v[24:25], v[16:17], -v[24:25]
	v_add_f64 v[48:49], v[32:33], -v[40:41]
	v_fma_f64 v[18:19], v[18:19], 2.0, -v[26:27]
	v_fma_f64 v[20:21], v[4:5], 2.0, -v[44:45]
	;; [unrolled: 1-line block ×5, first 2 shown]
	v_add_f64 v[6:7], v[18:19], -v[6:7]
	v_add_f64 v[4:5], v[16:17], -v[4:5]
	v_fma_f64 v[42:43], v[18:19], 2.0, -v[6:7]
	v_fma_f64 v[18:19], v[30:31], s[2:3], v[22:23]
	v_fma_f64 v[40:41], v[16:17], 2.0, -v[4:5]
	v_fma_f64 v[16:17], v[28:29], s[2:3], v[20:21]
	v_fma_f64 v[18:19], v[28:29], s[14:15], v[18:19]
	;; [unrolled: 1-line block ×5, first 2 shown]
	v_fma_f64 v[34:35], v[22:23], 2.0, -v[18:19]
	v_fma_f64 v[28:29], v[36:37], s[2:3], v[28:29]
	v_add_f64 v[22:23], v[26:27], v[48:49]
	v_add_f64 v[48:49], v[98:99], -v[151:152]
	v_fma_f64 v[32:33], v[20:21], 2.0, -v[16:17]
	v_fma_f64 v[30:31], v[38:39], s[14:15], v[30:31]
	v_add_f64 v[20:21], v[24:25], -v[50:51]
	v_add_f64 v[50:51], v[94:95], -v[149:150]
	v_fma_f64 v[36:37], v[44:45], 2.0, -v[28:29]
	v_add_f64 v[44:45], v[12:13], -v[90:91]
	v_fma_f64 v[52:53], v[98:99], 2.0, -v[48:49]
	;; [unrolled: 2-line block ×3, first 2 shown]
	v_fma_f64 v[38:39], v[46:47], 2.0, -v[30:31]
	v_add_f64 v[46:47], v[14:15], -v[84:85]
	v_fma_f64 v[54:55], v[94:95], 2.0, -v[50:51]
	v_add_f64 v[94:95], v[76:77], -v[104:105]
	v_add_f64 v[90:91], v[44:45], -v[50:51]
	v_fma_f64 v[12:13], v[12:13], 2.0, -v[44:45]
	v_fma_f64 v[78:79], v[78:79], 2.0, -v[98:99]
	v_add_f64 v[122:123], v[86:87], -v[98:99]
	v_fma_f64 v[24:25], v[24:25], 2.0, -v[20:21]
	v_add_f64 v[92:93], v[46:47], v[48:49]
	v_fma_f64 v[14:15], v[14:15], 2.0, -v[46:47]
	v_fma_f64 v[76:77], v[76:77], 2.0, -v[94:95]
	;; [unrolled: 1-line block ×4, first 2 shown]
	v_add_f64 v[84:85], v[12:13], -v[52:53]
	v_add_f64 v[120:121], v[94:95], v[96:97]
	v_fma_f64 v[86:87], v[86:87], 2.0, -v[122:123]
	v_fma_f64 v[50:51], v[46:47], 2.0, -v[92:93]
	;; [unrolled: 1-line block ×3, first 2 shown]
	v_add_f64 v[88:89], v[14:15], -v[54:55]
	v_add_f64 v[78:79], v[76:77], -v[78:79]
	v_fma_f64 v[52:53], v[12:13], 2.0, -v[84:85]
	v_fma_f64 v[12:13], v[60:61], 2.0, -v[68:69]
	;; [unrolled: 1-line block ×3, first 2 shown]
	v_fma_f64 v[58:59], v[44:45], s[2:3], v[50:51]
	v_fma_f64 v[56:57], v[46:47], s[2:3], v[48:49]
	v_fma_f64 v[54:55], v[14:15], 2.0, -v[88:89]
	v_fma_f64 v[14:15], v[62:63], 2.0, -v[70:71]
	;; [unrolled: 1-line block ×3, first 2 shown]
	v_add_f64 v[12:13], v[52:53], -v[12:13]
	v_fma_f64 v[46:47], v[46:47], s[14:15], v[58:59]
	v_fma_f64 v[44:45], v[44:45], s[2:3], v[56:57]
	v_add_f64 v[14:15], v[54:55], -v[14:15]
	v_fma_f64 v[52:53], v[52:53], 2.0, -v[12:13]
	v_fma_f64 v[62:63], v[50:51], 2.0, -v[46:47]
	;; [unrolled: 1-line block ×3, first 2 shown]
	v_add_f64 v[48:49], v[84:85], -v[70:71]
	v_add_f64 v[50:51], v[88:89], v[68:69]
	v_fma_f64 v[68:69], v[66:67], s[14:15], v[90:91]
	v_fma_f64 v[70:71], v[64:65], s[14:15], v[92:93]
	v_fma_f64 v[54:55], v[54:55], 2.0, -v[14:15]
	v_fma_f64 v[56:57], v[84:85], 2.0, -v[48:49]
	;; [unrolled: 1-line block ×3, first 2 shown]
	v_fma_f64 v[64:65], v[64:65], s[2:3], v[68:69]
	v_fma_f64 v[66:67], v[66:67], s[14:15], v[70:71]
	v_add_f64 v[84:85], v[8:9], -v[108:109]
	v_add_f64 v[88:89], v[10:11], -v[110:111]
	v_fma_f64 v[68:69], v[90:91], 2.0, -v[64:65]
	v_fma_f64 v[70:71], v[92:93], 2.0, -v[66:67]
	v_add_f64 v[90:91], v[80:81], -v[130:131]
	v_add_f64 v[92:93], v[82:83], -v[114:115]
	v_fma_f64 v[8:9], v[8:9], 2.0, -v[84:85]
	v_fma_f64 v[10:11], v[10:11], 2.0, -v[88:89]
	;; [unrolled: 1-line block ×4, first 2 shown]
	v_add_f64 v[92:93], v[84:85], -v[92:93]
	v_add_f64 v[90:91], v[88:89], v[90:91]
	v_add_f64 v[80:81], v[8:9], -v[80:81]
	v_add_f64 v[82:83], v[10:11], -v[82:83]
	v_fma_f64 v[84:85], v[84:85], 2.0, -v[92:93]
	v_fma_f64 v[88:89], v[88:89], 2.0, -v[90:91]
	;; [unrolled: 1-line block ×4, first 2 shown]
	v_add_f64 v[112:113], v[80:81], -v[78:79]
	v_add_f64 v[114:115], v[82:83], v[74:75]
	v_add_f64 v[78:79], v[0:1], -v[169:170]
	v_add_f64 v[74:75], v[167:168], -v[180:181]
	;; [unrolled: 1-line block ×5, first 2 shown]
	v_fma_f64 v[116:117], v[80:81], 2.0, -v[112:113]
	v_fma_f64 v[118:119], v[82:83], 2.0, -v[114:115]
	;; [unrolled: 1-line block ×5, first 2 shown]
	v_fma_f64 v[8:9], v[86:87], s[2:3], v[84:85]
	v_fma_f64 v[10:11], v[94:95], s[2:3], v[88:89]
	;; [unrolled: 1-line block ×6, first 2 shown]
	v_add_f64 v[94:95], v[161:162], -v[182:183]
	v_fma_f64 v[108:109], v[84:85], 2.0, -v[104:105]
	v_fma_f64 v[110:111], v[88:89], 2.0, -v[106:107]
	v_fma_f64 v[120:121], v[120:121], s[2:3], v[8:9]
	v_fma_f64 v[122:123], v[122:123], s[14:15], v[10:11]
	v_add_f64 v[84:85], v[2:3], -v[171:172]
	v_add_f64 v[88:89], v[157:158], -v[174:175]
	v_fma_f64 v[8:9], v[167:168], 2.0, -v[74:75]
	v_fma_f64 v[82:83], v[161:162], 2.0, -v[94:95]
	v_add_f64 v[74:75], v[78:79], -v[74:75]
	v_fma_f64 v[124:125], v[92:93], 2.0, -v[120:121]
	v_fma_f64 v[126:127], v[90:91], 2.0, -v[122:123]
	v_add_f64 v[90:91], v[159:160], -v[176:177]
	v_add_f64 v[92:93], v[165:166], -v[184:185]
	v_fma_f64 v[72:73], v[2:3], 2.0, -v[84:85]
	v_fma_f64 v[2:3], v[163:164], 2.0, -v[76:77]
	;; [unrolled: 1-line block ×3, first 2 shown]
	v_add_f64 v[76:77], v[84:85], v[76:77]
	v_fma_f64 v[80:81], v[159:160], 2.0, -v[90:91]
	v_fma_f64 v[86:87], v[165:166], 2.0, -v[92:93]
	v_add_f64 v[8:9], v[72:73], -v[8:9]
	v_add_f64 v[2:3], v[0:1], -v[2:3]
	;; [unrolled: 1-line block ×4, first 2 shown]
	v_add_f64 v[94:95], v[90:91], v[94:95]
	v_add_f64 v[86:87], v[80:81], -v[86:87]
	v_add_f64 v[130:131], v[8:9], v[82:83]
	v_add_f64 v[128:129], v[2:3], -v[86:87]
	buffer_store_dword v128, off, s[24:27], 0 offset:4 ; 4-byte Folded Spill
	s_nop 0
	buffer_store_dword v129, off, s[24:27], 0 offset:8 ; 4-byte Folded Spill
	buffer_store_dword v130, off, s[24:27], 0 offset:12 ; 4-byte Folded Spill
	;; [unrolled: 1-line block ×3, first 2 shown]
	v_fma_f64 v[128:129], v[92:93], s[14:15], v[74:75]
	v_fma_f64 v[130:131], v[94:95], s[14:15], v[76:77]
	;; [unrolled: 1-line block ×4, first 2 shown]
	buffer_store_dword v128, off, s[24:27], 0 offset:20 ; 4-byte Folded Spill
	s_nop 0
	buffer_store_dword v129, off, s[24:27], 0 offset:24 ; 4-byte Folded Spill
	buffer_store_dword v130, off, s[24:27], 0 offset:28 ; 4-byte Folded Spill
	;; [unrolled: 1-line block ×3, first 2 shown]
	s_waitcnt lgkmcnt(0)
	; wave barrier
	buffer_load_dword v129, off, s[24:27], 0 ; 4-byte Folded Reload
	v_mov_b32_e32 v128, 0x50
	v_cndmask_b32_e64 v128, 0, v128, s[0:1]
	v_or_b32_e32 v128, v191, v128
	s_waitcnt vmcnt(0)
	v_add_lshl_u32 v128, v129, v128, 4
	ds_write_b128 v128, v[40:43]
	ds_write_b128 v128, v[32:35] offset:160
	ds_write_b128 v128, v[24:27] offset:320
	;; [unrolled: 1-line block ×6, first 2 shown]
	v_mul_lo_u16_sdwa v4, v192, s16 dst_sel:DWORD dst_unused:UNUSED_PAD src0_sel:BYTE_1 src1_sel:DWORD
	v_or_b32_e32 v4, v4, v193
	v_and_b32_e32 v4, 0xff, v4
	v_add_lshl_u32 v4, v129, v4, 4
	buffer_store_dword v128, off, s[24:27], 0 offset:928 ; 4-byte Folded Spill
	ds_write_b128 v128, v[28:31] offset:1120
	ds_write_b128 v4, v[52:55]
	ds_write_b128 v4, v[60:63] offset:160
	ds_write_b128 v4, v[56:59] offset:320
	;; [unrolled: 1-line block ×6, first 2 shown]
	buffer_store_dword v4, off, s[24:27], 0 offset:996 ; 4-byte Folded Spill
	ds_write_b128 v4, v[64:67] offset:1120
	v_mul_u32_u24_sdwa v4, v194, s16 dst_sel:DWORD dst_unused:UNUSED_PAD src0_sel:BYTE_1 src1_sel:DWORD
	v_or_b32_e32 v4, v4, v195
	v_add_lshl_u32 v197, v129, v4, 4
	ds_write_b128 v197, v[100:103]
	ds_write_b128 v197, v[108:111] offset:160
	ds_write_b128 v197, v[116:119] offset:320
	;; [unrolled: 1-line block ×7, first 2 shown]
	s_and_saveexec_b64 s[0:1], vcc
	s_cbranch_execz .LBB0_5
; %bb.4:
	buffer_load_dword v32, off, s[24:27], 0 offset:20 ; 4-byte Folded Reload
	buffer_load_dword v33, off, s[24:27], 0 offset:24 ; 4-byte Folded Reload
	;; [unrolled: 1-line block ×8, first 2 shown]
	v_fma_f64 v[22:23], v[84:85], 2.0, -v[76:77]
	v_fma_f64 v[14:15], v[90:91], 2.0, -v[94:95]
	;; [unrolled: 1-line block ×8, first 2 shown]
	v_fma_f64 v[18:19], v[14:15], s[2:3], v[22:23]
	v_fma_f64 v[20:21], v[16:17], s[2:3], v[26:27]
	v_add_f64 v[12:13], v[24:25], -v[12:13]
	v_add_f64 v[10:11], v[0:1], -v[10:11]
	v_fma_f64 v[16:17], v[16:17], s[14:15], v[18:19]
	v_fma_f64 v[14:15], v[14:15], s[2:3], v[20:21]
	v_fma_f64 v[0:1], v[0:1], 2.0, -v[10:11]
	s_waitcnt vmcnt(4)
	v_fma_f64 v[6:7], v[76:77], 2.0, -v[34:35]
	s_waitcnt vmcnt(2)
	v_fma_f64 v[18:19], v[2:3], 2.0, -v[28:29]
	buffer_load_dword v2, off, s[24:27], 0 offset:584 ; 4-byte Folded Reload
	buffer_load_dword v3, off, s[24:27], 0 offset:588 ; 4-byte Folded Reload
	s_waitcnt vmcnt(2)
	v_fma_f64 v[20:21], v[8:9], 2.0, -v[30:31]
	buffer_load_dword v9, off, s[24:27], 0  ; 4-byte Folded Reload
	v_fma_f64 v[4:5], v[74:75], 2.0, -v[32:33]
	s_waitcnt vmcnt(2)
	v_mul_u32_u24_sdwa v2, v2, s16 dst_sel:DWORD dst_unused:UNUSED_PAD src0_sel:BYTE_1 src1_sel:DWORD
	s_waitcnt vmcnt(1)
	v_or_b32_e32 v8, v2, v3
	v_fma_f64 v[2:3], v[24:25], 2.0, -v[12:13]
	v_fma_f64 v[24:25], v[22:23], 2.0, -v[16:17]
	;; [unrolled: 1-line block ×3, first 2 shown]
	s_waitcnt vmcnt(0)
	v_add_lshl_u32 v8, v9, v8, 4
	ds_write_b128 v8, v[28:31] offset:960
	ds_write_b128 v8, v[18:21] offset:320
	;; [unrolled: 1-line block ×4, first 2 shown]
	ds_write_b128 v8, v[0:3]
	ds_write_b128 v8, v[14:17] offset:800
	ds_write_b128 v8, v[22:25] offset:160
	;; [unrolled: 1-line block ×3, first 2 shown]
.LBB0_5:
	s_or_b64 exec, exec, s[0:1]
	v_mov_b32_e32 v0, s10
	v_mov_b32_e32 v1, s11
	v_mad_u64_u32 v[56:57], s[0:1], v186, s16, v[0:1]
	buffer_store_dword v186, off, s[24:27], 0 offset:188 ; 4-byte Folded Spill
	s_waitcnt lgkmcnt(0)
	; wave barrier
	s_waitcnt lgkmcnt(0)
	global_load_dwordx4 v[224:227], v[56:57], off offset:1120
	global_load_dwordx4 v[220:223], v[56:57], off offset:1136
	;; [unrolled: 1-line block ×9, first 2 shown]
	s_movk_i32 s0, 0x500
	v_add_co_u32_e64 v58, s[0:1], s0, v56
	v_addc_co_u32_e64 v59, s[0:1], 0, v57, s[0:1]
	ds_read_b128 v[88:91], v240
	ds_read_b128 v[84:87], v196 offset:256
	ds_read_b128 v[60:63], v196 offset:2560
	;; [unrolled: 1-line block ×5, first 2 shown]
	global_load_dwordx4 v[20:23], v[56:57], off offset:2464
	ds_read_b128 v[104:107], v196 offset:1536
	ds_read_b128 v[108:111], v196 offset:1792
	global_load_dwordx4 v[36:39], v[56:57], off offset:3680
	global_load_dwordx4 v[24:27], v[56:57], off offset:3696
	ds_read_b128 v[112:115], v196 offset:4096
	ds_read_b128 v[116:119], v196 offset:4352
	;; [unrolled: 1-line block ×4, first 2 shown]
	global_load_dwordx4 v[28:31], v[56:57], off offset:3712
	ds_read_b128 v[128:131], v196 offset:3072
	ds_read_b128 v[132:135], v196 offset:3328
	;; [unrolled: 1-line block ×4, first 2 shown]
	global_load_dwordx4 v[32:35], v[56:57], off offset:3728
	global_load_dwordx4 v[40:43], v[56:57], off offset:3744
	;; [unrolled: 1-line block ×3, first 2 shown]
	ds_read_b128 v[144:147], v196 offset:1280
	ds_read_b128 v[148:151], v196 offset:2048
	;; [unrolled: 1-line block ×3, first 2 shown]
	s_movk_i32 s0, 0xa00
	v_add_co_u32_e64 v174, s[0:1], s0, v56
	v_addc_co_u32_e64 v175, s[0:1], 0, v57, s[0:1]
	global_load_dwordx4 v[48:51], v[58:59], off offset:3696
	ds_read_b128 v[156:159], v196 offset:3840
	ds_read_b128 v[160:163], v196 offset:3584
	;; [unrolled: 1-line block ×6, first 2 shown]
	global_load_dwordx4 v[52:55], v[58:59], off offset:3712
	ds_read_b128 v[236:239], v196 offset:7168
	global_load_dwordx4 v[80:83], v[58:59], off offset:3728
	global_load_dwordx4 v[76:79], v[58:59], off offset:3744
	;; [unrolled: 1-line block ×4, first 2 shown]
	s_nop 0
	global_load_dwordx4 v[56:59], v[174:175], off offset:3728
	global_load_dwordx4 v[64:67], v[174:175], off offset:3712
	v_mov_b32_e32 v172, v240
	s_mov_b32 s2, 0xe8584caa
	s_mov_b32 s3, 0x3febb67a
	;; [unrolled: 1-line block ×4, first 2 shown]
	s_add_u32 s0, s8, 0x1e00
	s_addc_u32 s1, s9, 0
	s_mov_b32 s14, 0x4755a5e
	s_mov_b32 s15, 0xbfe2cf23
	;; [unrolled: 1-line block ×10, first 2 shown]
	s_waitcnt vmcnt(23) lgkmcnt(9)
	v_mul_f64 v[176:177], v[146:147], v[226:227]
	v_mul_f64 v[178:179], v[144:145], v[226:227]
	s_waitcnt vmcnt(22)
	v_mul_f64 v[180:181], v[62:63], v[222:223]
	s_waitcnt vmcnt(21) lgkmcnt(6)
	v_mul_f64 v[184:185], v[158:159], v[218:219]
	v_mul_f64 v[182:183], v[60:61], v[222:223]
	;; [unrolled: 1-line block ×3, first 2 shown]
	s_waitcnt vmcnt(20)
	v_mul_f64 v[202:203], v[98:99], v[214:215]
	v_mul_f64 v[204:205], v[96:97], v[214:215]
	v_fma_f64 v[144:145], v[144:145], v[224:225], -v[176:177]
	buffer_store_dword v224, off, s[24:27], 0 offset:980 ; 4-byte Folded Spill
	s_nop 0
	buffer_store_dword v225, off, s[24:27], 0 offset:984 ; 4-byte Folded Spill
	buffer_store_dword v226, off, s[24:27], 0 offset:988 ; 4-byte Folded Spill
	buffer_store_dword v227, off, s[24:27], 0 offset:992 ; 4-byte Folded Spill
	v_fma_f64 v[180:181], v[60:61], v[220:221], -v[180:181]
	buffer_store_dword v220, off, s[24:27], 0 offset:964 ; 4-byte Folded Spill
	s_nop 0
	buffer_store_dword v221, off, s[24:27], 0 offset:968 ; 4-byte Folded Spill
	buffer_store_dword v222, off, s[24:27], 0 offset:972 ; 4-byte Folded Spill
	buffer_store_dword v223, off, s[24:27], 0 offset:976 ; 4-byte Folded Spill
	;; [unrolled: 6-line block ×4, first 2 shown]
	s_waitcnt vmcnt(35) lgkmcnt(2)
	v_mul_f64 v[206:207], v[193:194], v[2:3]
	s_waitcnt vmcnt(33)
	v_mul_f64 v[60:61], v[92:93], v[14:15]
	v_mul_f64 v[208:209], v[191:192], v[2:3]
	;; [unrolled: 1-line block ×4, first 2 shown]
	s_waitcnt vmcnt(32)
	v_mul_f64 v[184:185], v[112:113], v[10:11]
	v_fma_f64 v[191:192], v[191:192], v[0:1], -v[206:207]
	v_fma_f64 v[193:194], v[193:194], v[0:1], v[208:209]
	v_fma_f64 v[202:203], v[104:105], v[16:17], -v[210:211]
	v_fma_f64 v[176:177], v[106:107], v[16:17], v[176:177]
	s_waitcnt vmcnt(29)
	v_mul_f64 v[104:105], v[110:111], v[38:39]
	v_mul_f64 v[106:107], v[108:109], v[38:39]
	v_fma_f64 v[184:185], v[114:115], v[8:9], v[184:185]
	v_fma_f64 v[214:215], v[110:111], v[36:37], v[106:107]
	s_waitcnt vmcnt(24)
	v_mul_f64 v[106:107], v[150:151], v[46:47]
	v_fma_f64 v[230:231], v[148:149], v[44:45], -v[106:107]
	s_waitcnt vmcnt(20) lgkmcnt(0)
	v_mul_f64 v[106:107], v[238:239], v[78:79]
	v_fma_f64 v[146:147], v[146:147], v[224:225], v[178:179]
	v_mul_f64 v[178:179], v[94:95], v[14:15]
	v_fma_f64 v[182:183], v[62:63], v[220:221], v[182:183]
	;; [unrolled: 2-line block ×4, first 2 shown]
	v_fma_f64 v[204:205], v[94:95], v[12:13], v[60:61]
	v_mul_f64 v[94:95], v[122:123], v[22:23]
	v_fma_f64 v[178:179], v[92:93], v[12:13], -v[178:179]
	v_mul_f64 v[92:93], v[100:101], v[6:7]
	v_fma_f64 v[206:207], v[112:113], v[8:9], -v[62:63]
	global_load_dwordx4 v[60:63], v[174:175], off offset:3744
	v_fma_f64 v[174:175], v[100:101], v[4:5], -v[200:201]
	v_fma_f64 v[212:213], v[108:109], v[36:37], -v[104:105]
	v_mul_f64 v[104:105], v[124:125], v[42:43]
	v_fma_f64 v[208:209], v[120:121], v[20:21], -v[94:95]
	v_mul_f64 v[94:95], v[118:119], v[30:31]
	v_fma_f64 v[200:201], v[102:103], v[4:5], v[92:93]
	v_mul_f64 v[92:93], v[128:129], v[26:27]
	v_mul_f64 v[102:103], v[126:127], v[42:43]
	;; [unrolled: 1-line block ×3, first 2 shown]
	s_waitcnt vmcnt(17)
	v_mul_f64 v[108:109], v[170:171], v[66:67]
	v_fma_f64 v[228:229], v[126:127], v[40:41], v[104:105]
	v_mul_f64 v[104:105], v[140:141], v[82:83]
	v_fma_f64 v[220:221], v[116:117], v[28:29], -v[94:95]
	v_mul_f64 v[94:95], v[136:137], v[34:35]
	v_fma_f64 v[218:219], v[130:131], v[24:25], v[92:93]
	v_mul_f64 v[92:93], v[138:139], v[34:35]
	v_fma_f64 v[226:227], v[124:125], v[40:41], -v[102:103]
	v_mul_f64 v[102:103], v[142:143], v[82:83]
	v_mul_f64 v[112:113], v[130:131], v[26:27]
	v_fma_f64 v[210:211], v[122:123], v[20:21], v[100:101]
	v_mul_f64 v[100:101], v[116:117], v[30:31]
	v_fma_f64 v[224:225], v[138:139], v[32:33], v[94:95]
	v_mul_f64 v[94:95], v[132:133], v[50:51]
	v_fma_f64 v[186:187], v[136:137], v[32:33], -v[92:93]
	v_mul_f64 v[92:93], v[134:135], v[50:51]
	v_fma_f64 v[248:249], v[140:141], v[80:81], -v[102:103]
	v_fma_f64 v[250:251], v[142:143], v[80:81], v[104:105]
	v_mul_f64 v[114:115], v[168:169], v[66:67]
	v_add_f64 v[116:117], v[180:181], v[96:97]
	v_fma_f64 v[110:111], v[168:169], v[64:65], -v[108:109]
	v_fma_f64 v[242:243], v[134:135], v[48:49], v[94:95]
	v_mul_f64 v[94:95], v[236:237], v[78:79]
	v_fma_f64 v[240:241], v[132:133], v[48:49], -v[92:93]
	v_mul_f64 v[92:93], v[164:165], v[54:55]
	v_fma_f64 v[236:237], v[236:237], v[76:77], -v[106:107]
	;; [unrolled: 2-line block ×3, first 2 shown]
	v_add_f64 v[120:121], v[182:183], v[98:99]
	v_add_f64 v[124:125], v[158:159], -v[193:194]
	v_fma_f64 v[238:239], v[238:239], v[76:77], v[94:95]
	v_mul_f64 v[94:95], v[162:163], v[70:71]
	v_fma_f64 v[246:247], v[166:167], v[52:53], v[92:93]
	v_mul_f64 v[92:93], v[152:153], v[74:75]
	v_fma_f64 v[112:113], v[162:163], v[68:69], v[106:107]
	v_fma_f64 v[106:107], v[170:171], v[64:65], v[114:115]
	v_fma_f64 v[114:115], v[116:117], -0.5, v[88:89]
	v_add_f64 v[116:117], v[182:183], -v[98:99]
	v_fma_f64 v[222:223], v[118:119], v[28:29], v[100:101]
	v_fma_f64 v[104:105], v[160:161], v[68:69], -v[94:95]
	v_mul_f64 v[94:95], v[232:233], v[58:59]
	v_fma_f64 v[102:103], v[154:155], v[72:73], v[92:93]
	v_mul_f64 v[92:93], v[234:235], v[58:59]
	v_add_f64 v[88:89], v[88:89], v[180:181]
	v_add_f64 v[128:129], v[156:157], -v[191:192]
	v_fma_f64 v[118:119], v[116:117], s[2:3], v[114:115]
	v_fma_f64 v[116:117], v[116:117], s[10:11], v[114:115]
	v_add_f64 v[114:115], v[90:91], v[182:183]
	v_fma_f64 v[170:171], v[234:235], v[56:57], v[94:95]
	v_add_f64 v[94:95], v[158:159], v[193:194]
	v_fma_f64 v[108:109], v[232:233], v[56:57], -v[92:93]
	v_add_f64 v[92:93], v[156:157], v[191:192]
	v_fma_f64 v[90:91], v[120:121], -0.5, v[90:91]
	v_add_f64 v[132:133], v[88:89], v[96:97]
	v_add_f64 v[134:135], v[146:147], v[158:159]
	v_add_f64 v[96:97], v[180:181], -v[96:97]
	v_mul_f64 v[100:101], v[148:149], v[46:47]
	v_fma_f64 v[126:127], v[94:95], -0.5, v[146:147]
	v_add_f64 v[148:149], v[178:179], -v[174:175]
	v_fma_f64 v[122:123], v[92:93], -0.5, v[144:145]
	ds_read_b128 v[92:95], v196 offset:7424
	v_add_f64 v[134:135], v[134:135], v[193:194]
	v_fma_f64 v[140:141], v[96:97], s[10:11], v[90:91]
	v_fma_f64 v[142:143], v[96:97], s[2:3], v[90:91]
	;; [unrolled: 1-line block ×6, first 2 shown]
	v_add_f64 v[126:127], v[114:115], v[98:99]
	s_waitcnt vmcnt(0) lgkmcnt(0)
	v_mul_f64 v[124:125], v[94:95], v[62:63]
	v_add_f64 v[98:99], v[144:145], v[156:157]
	v_mul_f64 v[90:91], v[92:93], v[62:63]
	v_mul_f64 v[114:115], v[130:131], s[2:3]
	v_mul_f64 v[138:139], v[88:89], -0.5
	v_mul_f64 v[136:137], v[120:121], s[10:11]
	v_mul_f64 v[128:129], v[122:123], -0.5
	v_fma_f64 v[198:199], v[150:151], v[44:45], v[100:101]
	v_fma_f64 v[252:253], v[92:93], v[60:61], -v[124:125]
	v_add_f64 v[144:145], v[98:99], v[191:192]
	v_add_f64 v[98:99], v[126:127], v[134:135]
	v_fma_f64 v[120:121], v[120:121], 0.5, v[114:115]
	v_add_f64 v[124:125], v[184:185], v[210:211]
	v_fma_f64 v[130:131], v[130:131], 0.5, v[136:137]
	v_fma_f64 v[128:129], v[88:89], s[2:3], v[128:129]
	v_fma_f64 v[136:137], v[122:123], s[10:11], v[138:139]
	v_mul_f64 v[100:101], v[166:167], v[54:55]
	v_fma_f64 v[254:255], v[94:95], v[60:61], v[90:91]
	v_add_f64 v[138:139], v[184:185], -v[210:211]
	v_add_f64 v[92:93], v[118:119], v[120:121]
	v_add_f64 v[118:119], v[118:119], -v[120:121]
	v_add_f64 v[94:95], v[140:141], v[130:131]
	v_add_f64 v[88:89], v[116:117], v[128:129]
	v_add_f64 v[122:123], v[116:117], -v[128:129]
	v_add_f64 v[116:117], v[126:127], -v[134:135]
	v_add_f64 v[126:127], v[206:207], v[208:209]
	v_add_f64 v[120:121], v[140:141], -v[130:131]
	v_fma_f64 v[130:131], v[124:125], -0.5, v[176:177]
	v_add_f64 v[134:135], v[206:207], -v[208:209]
	v_fma_f64 v[244:245], v[164:165], v[52:53], -v[100:101]
	v_mul_f64 v[100:101], v[154:155], v[74:75]
	v_add_f64 v[90:91], v[142:143], v[136:137]
	v_add_f64 v[128:129], v[178:179], v[174:175]
	v_fma_f64 v[126:127], v[126:127], -0.5, v[202:203]
	v_add_f64 v[124:125], v[142:143], -v[136:137]
	v_add_f64 v[96:97], v[132:133], v[144:145]
	v_fma_f64 v[142:143], v[134:135], s[10:11], v[130:131]
	v_add_f64 v[114:115], v[132:133], -v[144:145]
	v_fma_f64 v[100:101], v[152:153], v[72:73], -v[100:101]
	v_add_f64 v[132:133], v[204:205], v[200:201]
	v_fma_f64 v[128:129], v[128:129], -0.5, v[84:85]
	v_fma_f64 v[146:147], v[138:139], s[2:3], v[126:127]
	v_add_f64 v[144:145], v[204:205], -v[200:201]
	v_add_f64 v[150:151], v[202:203], v[206:207]
	v_mul_f64 v[152:153], v[142:143], s[2:3]
	v_fma_f64 v[138:139], v[138:139], s[10:11], v[126:127]
	v_fma_f64 v[130:131], v[134:135], s[2:3], v[130:131]
	v_add_f64 v[136:137], v[84:85], v[178:179]
	v_add_f64 v[140:141], v[86:87], v[204:205]
	v_mul_f64 v[154:155], v[146:147], s[10:11]
	v_fma_f64 v[132:133], v[132:133], -0.5, v[86:87]
	v_add_f64 v[126:127], v[176:177], v[184:185]
	v_fma_f64 v[156:157], v[144:145], s[2:3], v[128:129]
	v_add_f64 v[134:135], v[150:151], v[208:209]
	v_fma_f64 v[146:147], v[146:147], 0.5, v[152:153]
	v_mul_f64 v[150:151], v[138:139], -0.5
	v_add_f64 v[136:137], v[136:137], v[174:175]
	v_fma_f64 v[142:143], v[142:143], 0.5, v[154:155]
	v_mul_f64 v[154:155], v[130:131], -0.5
	v_add_f64 v[140:141], v[140:141], v[200:201]
	v_fma_f64 v[152:153], v[148:149], s[10:11], v[132:133]
	v_add_f64 v[158:159], v[126:127], v[210:211]
	v_fma_f64 v[160:161], v[144:145], s[10:11], v[128:129]
	v_fma_f64 v[148:149], v[148:149], s[2:3], v[132:133]
	;; [unrolled: 1-line block ×3, first 2 shown]
	v_add_f64 v[130:131], v[156:157], v[146:147]
	v_fma_f64 v[154:155], v[138:139], s[10:11], v[154:155]
	v_add_f64 v[138:139], v[156:157], -v[146:147]
	v_add_f64 v[156:157], v[216:217], v[186:187]
	ds_read_b128 v[84:87], v196 offset:512
	v_add_f64 v[126:127], v[136:137], v[134:135]
	v_add_f64 v[128:129], v[140:141], v[158:159]
	;; [unrolled: 1-line block ×3, first 2 shown]
	v_add_f64 v[134:135], v[136:137], -v[134:135]
	v_add_f64 v[136:137], v[140:141], -v[158:159]
	;; [unrolled: 1-line block ×3, first 2 shown]
	v_add_f64 v[152:153], v[220:221], v[226:227]
	v_add_f64 v[142:143], v[160:161], v[150:151]
	;; [unrolled: 1-line block ×3, first 2 shown]
	v_add_f64 v[146:147], v[160:161], -v[150:151]
	v_add_f64 v[148:149], v[148:149], -v[154:155]
	s_waitcnt lgkmcnt(0)
	v_fma_f64 v[154:155], v[156:157], -0.5, v[84:85]
	v_add_f64 v[156:157], v[218:219], -v[224:225]
	v_add_f64 v[160:161], v[222:223], v[228:229]
	v_add_f64 v[150:151], v[218:219], v[224:225]
	v_fma_f64 v[152:153], v[152:153], -0.5, v[212:213]
	v_add_f64 v[158:159], v[222:223], -v[228:229]
	v_add_f64 v[162:163], v[86:87], v[218:219]
	v_add_f64 v[84:85], v[84:85], v[216:217]
	;; [unrolled: 1-line block ×3, first 2 shown]
	v_fma_f64 v[164:165], v[156:157], s[2:3], v[154:155]
	v_fma_f64 v[174:175], v[156:157], s[10:11], v[154:155]
	v_fma_f64 v[154:155], v[160:161], -0.5, v[214:215]
	v_add_f64 v[156:157], v[220:221], -v[226:227]
	v_fma_f64 v[150:151], v[150:151], -0.5, v[86:87]
	v_fma_f64 v[86:87], v[158:159], s[2:3], v[152:153]
	v_fma_f64 v[152:153], v[158:159], s[10:11], v[152:153]
	v_add_f64 v[158:159], v[212:213], v[220:221]
	v_add_f64 v[176:177], v[216:217], -v[186:187]
	v_add_f64 v[162:163], v[162:163], v[224:225]
	v_add_f64 v[166:167], v[166:167], v[228:229]
	v_fma_f64 v[160:161], v[156:157], s[10:11], v[154:155]
	v_fma_f64 v[154:155], v[156:157], s[2:3], v[154:155]
	v_mul_f64 v[180:181], v[86:87], s[10:11]
	v_mul_f64 v[178:179], v[152:153], -0.5
	v_add_f64 v[156:157], v[84:85], v[186:187]
	v_add_f64 v[158:159], v[158:159], v[226:227]
	v_fma_f64 v[184:185], v[176:177], s[10:11], v[150:151]
	v_fma_f64 v[176:177], v[176:177], s[2:3], v[150:151]
	v_mul_f64 v[168:169], v[160:161], s[2:3]
	v_mul_f64 v[182:183], v[154:155], -0.5
	v_fma_f64 v[180:181], v[160:161], 0.5, v[180:181]
	v_fma_f64 v[178:179], v[154:155], s[2:3], v[178:179]
	v_add_f64 v[160:161], v[162:163], -v[166:167]
	v_add_f64 v[150:151], v[156:157], v[158:159]
	v_add_f64 v[158:159], v[156:157], -v[158:159]
	v_add_f64 v[200:201], v[244:245], -v[236:237]
	v_fma_f64 v[168:169], v[86:87], 0.5, v[168:169]
	v_fma_f64 v[182:183], v[152:153], s[10:11], v[182:183]
	v_add_f64 v[152:153], v[162:163], v[166:167]
	v_add_f64 v[162:163], v[174:175], v[178:179]
	;; [unrolled: 1-line block ×3, first 2 shown]
	v_add_f64 v[191:192], v[174:175], -v[178:179]
	v_add_f64 v[174:175], v[244:245], v[236:237]
	ds_read_b128 v[84:87], v196 offset:768
	v_add_f64 v[154:155], v[164:165], v[168:169]
	v_add_f64 v[166:167], v[164:165], -v[168:169]
	v_add_f64 v[168:169], v[184:185], -v[180:181]
	v_add_f64 v[180:181], v[240:241], v[248:249]
	v_add_f64 v[184:185], v[242:243], v[250:251]
	;; [unrolled: 1-line block ×3, first 2 shown]
	v_fma_f64 v[174:175], v[174:175], -0.5, v[230:231]
	v_add_f64 v[193:194], v[176:177], -v[182:183]
	s_waitcnt lgkmcnt(0)
	v_add_f64 v[176:177], v[86:87], v[242:243]
	v_add_f64 v[186:187], v[230:231], v[244:245]
	v_add_f64 v[182:183], v[242:243], -v[250:251]
	v_fma_f64 v[178:179], v[180:181], -0.5, v[84:85]
	v_add_f64 v[180:181], v[246:247], -v[238:239]
	v_fma_f64 v[86:87], v[184:185], -0.5, v[86:87]
	v_add_f64 v[84:85], v[84:85], v[240:241]
	v_add_f64 v[176:177], v[176:177], v[250:251]
	;; [unrolled: 1-line block ×3, first 2 shown]
	v_fma_f64 v[210:211], v[182:183], s[2:3], v[178:179]
	v_fma_f64 v[184:185], v[180:181], s[2:3], v[174:175]
	;; [unrolled: 1-line block ×3, first 2 shown]
	v_add_f64 v[180:181], v[246:247], v[238:239]
	v_add_f64 v[204:205], v[84:85], v[248:249]
	v_add_f64 v[84:85], v[240:241], -v[248:249]
	v_fma_f64 v[182:183], v[182:183], s[10:11], v[178:179]
	v_mov_b32_e32 v240, v172
	v_mul_f64 v[206:207], v[184:185], s[10:11]
	v_fma_f64 v[180:181], v[180:181], -0.5, v[198:199]
	v_add_f64 v[198:199], v[198:199], v[246:247]
	v_fma_f64 v[212:213], v[84:85], s[2:3], v[86:87]
	v_add_f64 v[236:237], v[204:205], -v[186:187]
	v_fma_f64 v[202:203], v[200:201], s[10:11], v[180:181]
	v_fma_f64 v[180:181], v[200:201], s[2:3], v[180:181]
	v_add_f64 v[198:199], v[198:199], v[238:239]
	v_mul_f64 v[200:201], v[202:203], s[2:3]
	v_fma_f64 v[202:203], v[202:203], 0.5, v[206:207]
	v_fma_f64 v[206:207], v[84:85], s[10:11], v[86:87]
	v_add_f64 v[84:85], v[204:205], v[186:187]
	v_add_f64 v[86:87], v[176:177], v[198:199]
	v_add_f64 v[238:239], v[176:177], -v[198:199]
	v_add_f64 v[186:187], v[104:105], v[108:109]
	v_add_f64 v[198:199], v[112:113], v[170:171]
	v_fma_f64 v[184:185], v[184:185], 0.5, v[200:201]
	v_mul_f64 v[200:201], v[174:175], -0.5
	v_add_f64 v[234:235], v[206:207], v[202:203]
	v_add_f64 v[176:177], v[206:207], -v[202:203]
	v_mul_f64 v[208:209], v[180:181], -0.5
	v_add_f64 v[206:207], v[106:107], -v[254:255]
	v_add_f64 v[232:233], v[210:211], v[184:185]
	v_fma_f64 v[200:201], v[180:181], s[2:3], v[200:201]
	v_fma_f64 v[208:209], v[174:175], s[10:11], v[208:209]
	v_add_f64 v[174:175], v[210:211], -v[184:185]
	v_add_f64 v[178:179], v[182:183], v[200:201]
	v_add_f64 v[182:183], v[182:183], -v[200:201]
	ds_read_b128 v[200:203], v196 offset:1024
	v_add_f64 v[180:181], v[212:213], v[208:209]
	v_add_f64 v[184:185], v[212:213], -v[208:209]
	s_waitcnt lgkmcnt(0)
	v_fma_f64 v[186:187], v[186:187], -0.5, v[200:201]
	v_fma_f64 v[198:199], v[198:199], -0.5, v[202:203]
	v_add_f64 v[202:203], v[202:203], v[112:113]
	v_add_f64 v[112:113], v[112:113], -v[170:171]
	v_add_f64 v[200:201], v[200:201], v[104:105]
	v_add_f64 v[104:105], v[104:105], -v[108:109]
	v_add_f64 v[170:171], v[202:203], v[170:171]
	v_fma_f64 v[204:205], v[112:113], s[2:3], v[186:187]
	v_fma_f64 v[112:113], v[112:113], s[10:11], v[186:187]
	v_add_f64 v[186:187], v[110:111], v[252:253]
	v_fma_f64 v[186:187], v[186:187], -0.5, v[100:101]
	v_add_f64 v[100:101], v[100:101], v[110:111]
	v_add_f64 v[110:111], v[110:111], -v[252:253]
	v_fma_f64 v[208:209], v[206:207], s[2:3], v[186:187]
	v_fma_f64 v[186:187], v[206:207], s[10:11], v[186:187]
	v_add_f64 v[206:207], v[106:107], v[254:255]
	v_fma_f64 v[206:207], v[206:207], -0.5, v[102:103]
	v_add_f64 v[102:103], v[102:103], v[106:107]
	v_add_f64 v[106:107], v[200:201], v[108:109]
	;; [unrolled: 1-line block ×3, first 2 shown]
	v_fma_f64 v[210:211], v[110:111], s[10:11], v[206:207]
	v_fma_f64 v[110:111], v[110:111], s[2:3], v[206:207]
	v_add_f64 v[202:203], v[102:103], v[254:255]
	v_mul_f64 v[102:103], v[186:187], -0.5
	v_fma_f64 v[206:207], v[104:105], s[10:11], v[198:199]
	v_fma_f64 v[198:199], v[104:105], s[2:3], v[198:199]
	v_add_f64 v[104:105], v[106:107], -v[108:109]
	v_mul_f64 v[100:101], v[210:211], s[2:3]
	v_fma_f64 v[200:201], v[208:209], 0.5, v[100:101]
	v_mul_f64 v[100:101], v[208:209], s[10:11]
	v_fma_f64 v[208:209], v[210:211], 0.5, v[100:101]
	v_mul_f64 v[100:101], v[110:111], -0.5
	v_fma_f64 v[210:211], v[110:111], s[2:3], v[102:103]
	v_add_f64 v[102:103], v[170:171], v[202:203]
	s_mov_b32 s3, 0x3fee6f0e
	v_add_f64 v[110:111], v[206:207], v[208:209]
	v_fma_f64 v[186:187], v[186:187], s[10:11], v[100:101]
	v_add_f64 v[100:101], v[106:107], v[108:109]
	v_add_f64 v[106:107], v[170:171], -v[202:203]
	v_add_f64 v[108:109], v[204:205], v[200:201]
	v_add_f64 v[200:201], v[204:205], -v[200:201]
	v_add_f64 v[202:203], v[206:207], -v[208:209]
	v_add_f64 v[204:205], v[112:113], v[210:211]
	v_add_f64 v[208:209], v[112:113], -v[210:211]
	v_add_f64 v[206:207], v[198:199], v[186:187]
	v_add_f64 v[210:211], v[198:199], -v[186:187]
	ds_write_b128 v172, v[96:99]
	ds_write_b128 v196, v[92:95] offset:1280
	ds_write_b128 v196, v[88:91] offset:2560
	;; [unrolled: 1-line block ×29, first 2 shown]
	s_waitcnt lgkmcnt(0)
	; wave barrier
	s_waitcnt lgkmcnt(0)
	global_load_dwordx4 v[108:111], v173, s[0:1]
	global_load_dwordx4 v[100:103], v173, s[0:1] offset:768
	global_load_dwordx4 v[92:95], v173, s[0:1] offset:1536
	;; [unrolled: 1-line block ×5, first 2 shown]
	buffer_load_dword v96, off, s[24:27], 0 offset:560 ; 4-byte Folded Reload
	buffer_load_dword v116, off, s[24:27], 0 offset:548 ; 4-byte Folded Reload
	ds_read_b128 v[112:115], v172
	s_mov_b32 s11, 0x3fe2cf23
	s_mov_b32 s10, s14
	s_waitcnt vmcnt(7) lgkmcnt(0)
	v_mul_f64 v[124:125], v[114:115], v[110:111]
	v_mul_f64 v[110:111], v[112:113], v[110:111]
	v_fma_f64 v[124:125], v[112:113], v[108:109], -v[124:125]
	v_fma_f64 v[126:127], v[114:115], v[108:109], v[110:111]
	buffer_load_dword v108, off, s[24:27], 0 offset:556 ; 4-byte Folded Reload
	s_waitcnt vmcnt(1)
	global_load_dwordx4 v[120:123], v116, s[0:1]
	s_nop 0
	global_load_dwordx4 v[96:99], v96, s[0:1]
	s_nop 0
	buffer_load_dword v116, off, s[24:27], 0 offset:552 ; 4-byte Folded Reload
	s_waitcnt vmcnt(0)
	global_load_dwordx4 v[116:119], v116, s[0:1]
	s_nop 0
	global_load_dwordx4 v[112:115], v108, s[0:1]
	s_nop 0
	global_load_dwordx4 v[108:111], v173, s[0:1] offset:256
	ds_write_b128 v172, v[124:127]
	ds_read_b128 v[124:127], v196 offset:768
	ds_read_b128 v[132:135], v196 offset:1024
	global_load_dwordx4 v[128:131], v173, s[0:1] offset:1024
	global_load_dwordx4 v[136:139], v173, s[0:1] offset:1792
	global_load_dwordx4 v[140:143], v173, s[0:1] offset:512
	ds_read_b128 v[144:147], v196 offset:1536
	s_waitcnt lgkmcnt(2)
	v_mul_f64 v[148:149], v[126:127], v[102:103]
	v_mul_f64 v[102:103], v[124:125], v[102:103]
	ds_read_b128 v[152:155], v196 offset:2304
	ds_read_b128 v[156:159], v196 offset:2560
	global_load_dwordx4 v[160:163], v173, s[0:1] offset:2048
	s_waitcnt lgkmcnt(1)
	v_mul_f64 v[166:167], v[154:155], v[106:107]
	v_fma_f64 v[124:125], v[124:125], v[100:101], -v[148:149]
	v_fma_f64 v[126:127], v[126:127], v[100:101], v[102:103]
	ds_read_b128 v[100:103], v196 offset:1280
	v_mul_f64 v[164:165], v[146:147], v[94:95]
	v_mul_f64 v[94:95], v[144:145], v[94:95]
	;; [unrolled: 1-line block ×3, first 2 shown]
	global_load_dwordx4 v[148:151], v173, s[0:1] offset:2560
	ds_write_b128 v196, v[124:127] offset:768
	v_fma_f64 v[124:125], v[144:145], v[92:93], -v[164:165]
	v_fma_f64 v[126:127], v[146:147], v[92:93], v[94:95]
	ds_read_b128 v[92:95], v196 offset:3072
	v_fma_f64 v[144:145], v[152:153], v[104:105], -v[166:167]
	v_fma_f64 v[146:147], v[154:155], v[104:105], v[106:107]
	ds_read_b128 v[152:155], v196 offset:2816
	global_load_dwordx4 v[104:107], v173, s[0:1] offset:3328
	ds_read_b128 v[164:167], v196 offset:3840
	ds_read_b128 v[168:171], v196 offset:4096
	buffer_load_dword v172, off, s[24:27], 0 offset:540 ; 4-byte Folded Reload
	s_waitcnt lgkmcnt(3)
	v_mul_f64 v[186:187], v[94:95], v[86:87]
	v_mul_f64 v[86:87], v[92:93], v[86:87]
	s_waitcnt lgkmcnt(1)
	v_mul_f64 v[198:199], v[166:167], v[90:91]
	v_mul_f64 v[208:209], v[164:165], v[90:91]
	s_waitcnt vmcnt(6)
	v_mul_f64 v[212:213], v[134:135], v[130:131]
	v_mul_f64 v[214:215], v[132:133], v[130:131]
	v_fma_f64 v[130:131], v[132:133], v[128:129], -v[212:213]
	v_fma_f64 v[132:133], v[134:135], v[128:129], v[214:215]
	s_waitcnt vmcnt(0)
	global_load_dwordx4 v[174:177], v172, s[0:1]
	s_nop 0
	buffer_load_dword v172, off, s[24:27], 0 offset:544 ; 4-byte Folded Reload
	s_waitcnt vmcnt(0)
	global_load_dwordx4 v[178:181], v172, s[0:1]
	global_load_dwordx4 v[182:185], v173, s[0:1] offset:3584
	buffer_load_dword v90, off, s[24:27], 0 offset:532 ; 4-byte Folded Reload
	ds_read_b128 v[191:194], v196 offset:4608
	ds_read_b128 v[204:207], v196 offset:4352
	s_waitcnt lgkmcnt(1)
	v_mul_f64 v[210:211], v[193:194], v[98:99]
	v_mul_f64 v[98:99], v[191:192], v[98:99]
	s_waitcnt vmcnt(0)
	global_load_dwordx4 v[200:203], v90, s[0:1]
	ds_write_b128 v196, v[124:127] offset:1536
	ds_write_b128 v196, v[144:147] offset:2304
	v_fma_f64 v[90:91], v[92:93], v[84:85], -v[186:187]
	v_fma_f64 v[92:93], v[94:95], v[84:85], v[86:87]
	v_fma_f64 v[84:85], v[164:165], v[88:89], -v[198:199]
	v_fma_f64 v[86:87], v[166:167], v[88:89], v[208:209]
	buffer_load_dword v88, off, s[24:27], 0 offset:528 ; 4-byte Folded Reload
	ds_read_b128 v[164:167], v196 offset:5376
	v_fma_f64 v[94:95], v[191:192], v[96:97], -v[210:211]
	v_fma_f64 v[96:97], v[193:194], v[96:97], v[98:99]
	s_waitcnt lgkmcnt(0)
	v_mul_f64 v[98:99], v[164:165], v[122:123]
	s_waitcnt vmcnt(0)
	global_load_dwordx4 v[124:127], v88, s[0:1]
	s_nop 0
	buffer_load_dword v88, off, s[24:27], 0 offset:536 ; 4-byte Folded Reload
	s_waitcnt vmcnt(0)
	global_load_dwordx4 v[144:147], v88, s[0:1]
	v_mul_f64 v[88:89], v[166:167], v[122:123]
	ds_read_b128 v[191:194], v196 offset:6144
	ds_read_b128 v[208:211], v196 offset:5632
	global_load_dwordx4 v[232:235], v173, s[0:1] offset:1280
	ds_read_b128 v[236:239], v196 offset:5888
	ds_write_b128 v196, v[90:93] offset:3072
	ds_write_b128 v196, v[84:87] offset:3840
	;; [unrolled: 1-line block ×3, first 2 shown]
	s_waitcnt lgkmcnt(5)
	v_mul_f64 v[122:123], v[193:194], v[118:119]
	v_fma_f64 v[86:87], v[166:167], v[120:121], v[98:99]
	ds_read_b128 v[96:99], v196 offset:256
	v_fma_f64 v[84:85], v[164:165], v[120:121], -v[88:89]
	ds_read_b128 v[88:91], v196 offset:6912
	v_mul_f64 v[118:119], v[191:192], v[118:119]
	s_waitcnt lgkmcnt(1)
	v_mul_f64 v[198:199], v[98:99], v[110:111]
	v_fma_f64 v[92:93], v[191:192], v[116:117], -v[122:123]
	global_load_dwordx4 v[120:123], v173, s[0:1] offset:2816
	v_mul_f64 v[172:173], v[96:97], v[110:111]
	buffer_load_dword v110, off, s[24:27], 0 offset:564 ; 4-byte Folded Reload
	s_waitcnt lgkmcnt(0)
	v_mul_f64 v[186:187], v[90:91], v[114:115]
	v_mul_f64 v[114:115], v[88:89], v[114:115]
	v_fma_f64 v[94:95], v[193:194], v[116:117], v[118:119]
	ds_read_b128 v[116:119], v196 offset:7168
	v_fma_f64 v[96:97], v[96:97], v[108:109], -v[198:199]
	v_fma_f64 v[98:99], v[98:99], v[108:109], v[172:173]
	v_fma_f64 v[88:89], v[88:89], v[112:113], -v[186:187]
	v_fma_f64 v[90:91], v[90:91], v[112:113], v[114:115]
	s_waitcnt vmcnt(0)
	global_load_dwordx4 v[164:167], v110, s[0:1]
	ds_read_b128 v[110:113], v196 offset:1792
	ds_read_b128 v[191:194], v196 offset:512
	buffer_load_dword v128, off, s[24:27], 0 offset:568 ; 4-byte Folded Reload
	buffer_load_dword v134, off, s[24:27], 0 offset:572 ; 4-byte Folded Reload
	s_waitcnt lgkmcnt(1)
	v_mul_f64 v[108:109], v[112:113], v[138:139]
	v_mul_f64 v[114:115], v[110:111], v[138:139]
	;; [unrolled: 1-line block ×3, first 2 shown]
	v_fma_f64 v[108:109], v[110:111], v[136:137], -v[108:109]
	v_fma_f64 v[110:111], v[112:113], v[136:137], v[114:115]
	buffer_load_dword v112, off, s[24:27], 0 offset:580 ; 4-byte Folded Reload
	s_waitcnt vmcnt(2)
	global_load_dwordx4 v[212:215], v128, s[0:1]
	s_waitcnt vmcnt(2)
	global_load_dwordx4 v[216:219], v134, s[0:1]
	s_nop 0
	buffer_load_dword v134, off, s[24:27], 0 offset:576 ; 4-byte Folded Reload
	s_waitcnt vmcnt(3)
	global_load_dwordx4 v[112:115], v112, s[0:1]
	v_mul_f64 v[128:129], v[158:159], v[150:151]
	s_waitcnt vmcnt(1)
	global_load_dwordx4 v[220:223], v134, s[0:1]
	ds_read_b128 v[134:137], v196 offset:2048
	ds_write_b128 v196, v[84:87] offset:5376
	ds_write_b128 v196, v[92:95] offset:6144
	v_fma_f64 v[84:85], v[156:157], v[148:149], -v[128:129]
	v_fma_f64 v[86:87], v[158:159], v[148:149], v[138:139]
	ds_write_b128 v196, v[88:91] offset:6912
	ds_read_b128 v[88:91], v196 offset:3328
	ds_write_b128 v196, v[96:99] offset:256
	ds_write_b128 v196, v[130:133] offset:1024
	;; [unrolled: 1-line block ×3, first 2 shown]
	ds_read_b128 v[92:95], v196 offset:3584
	v_mul_f64 v[110:111], v[170:171], v[176:177]
	v_mul_f64 v[128:129], v[168:169], v[176:177]
	s_waitcnt lgkmcnt(4)
	v_mul_f64 v[108:109], v[90:91], v[106:107]
	ds_write_b128 v196, v[84:87] offset:2560
	ds_read_b128 v[84:87], v196 offset:4864
	v_mul_f64 v[106:107], v[88:89], v[106:107]
	v_mul_f64 v[138:139], v[210:211], v[202:203]
	ds_read_b128 v[96:99], v196 offset:5120
	v_mul_f64 v[148:149], v[208:209], v[202:203]
	s_waitcnt lgkmcnt(1)
	v_mul_f64 v[132:133], v[84:85], v[180:181]
	v_fma_f64 v[88:89], v[88:89], v[104:105], -v[108:109]
	v_mul_f64 v[130:131], v[86:87], v[180:181]
	v_mul_f64 v[156:157], v[193:194], v[142:143]
	v_fma_f64 v[90:91], v[90:91], v[104:105], v[106:107]
	v_fma_f64 v[104:105], v[168:169], v[174:175], -v[110:111]
	ds_read_b128 v[108:111], v196 offset:6400
	v_fma_f64 v[106:107], v[170:171], v[174:175], v[128:129]
	v_fma_f64 v[86:87], v[86:87], v[178:179], v[132:133]
	v_fma_f64 v[128:129], v[208:209], v[200:201], -v[138:139]
	v_mul_f64 v[138:139], v[118:119], v[146:147]
	s_waitcnt lgkmcnt(0)
	v_mul_f64 v[132:133], v[110:111], v[126:127]
	v_mul_f64 v[126:127], v[108:109], v[126:127]
	;; [unrolled: 1-line block ×6, first 2 shown]
	v_fma_f64 v[84:85], v[84:85], v[178:179], -v[130:131]
	v_fma_f64 v[130:131], v[210:211], v[200:201], v[148:149]
	v_fma_f64 v[108:109], v[108:109], v[124:125], -v[132:133]
	v_fma_f64 v[110:111], v[110:111], v[124:125], v[126:127]
	;; [unrolled: 2-line block ×5, first 2 shown]
	ds_read_b128 v[148:151], v196 offset:6656
	ds_write_b128 v196, v[88:91] offset:3328
	ds_write_b128 v196, v[104:107] offset:4096
	ds_write_b128 v196, v[84:87] offset:4864
	ds_write_b128 v196, v[128:131] offset:5632
	ds_write_b128 v196, v[108:111] offset:6400
	ds_write_b128 v196, v[116:119] offset:7168
	ds_write_b128 v196, v[124:127] offset:512
	ds_write_b128 v196, v[100:103] offset:1280
	v_mul_f64 v[100:101], v[94:95], v[184:185]
	v_mul_f64 v[102:103], v[92:93], v[184:185]
	;; [unrolled: 1-line block ×8, first 2 shown]
	v_fma_f64 v[92:93], v[92:93], v[182:183], -v[100:101]
	v_fma_f64 v[94:95], v[94:95], v[182:183], v[102:103]
	v_fma_f64 v[100:101], v[204:205], v[164:165], -v[104:105]
	v_fma_f64 v[102:103], v[206:207], v[164:165], v[106:107]
	ds_read_b128 v[104:107], v196 offset:7424
	v_mul_f64 v[108:109], v[98:99], v[214:215]
	v_mul_f64 v[110:111], v[96:97], v[214:215]
	v_mul_f64 v[116:117], v[238:239], v[218:219]
	v_mul_f64 v[118:119], v[236:237], v[218:219]
	v_fma_f64 v[88:89], v[152:153], v[120:121], -v[88:89]
	v_fma_f64 v[90:91], v[154:155], v[120:121], v[90:91]
	s_waitcnt vmcnt(1) lgkmcnt(0)
	v_mul_f64 v[124:125], v[106:107], v[114:115]
	v_mul_f64 v[126:127], v[104:105], v[114:115]
	v_fma_f64 v[84:85], v[134:135], v[160:161], -v[84:85]
	v_fma_f64 v[86:87], v[136:137], v[160:161], v[86:87]
	v_fma_f64 v[96:97], v[96:97], v[212:213], -v[108:109]
	v_fma_f64 v[98:99], v[98:99], v[212:213], v[110:111]
	;; [unrolled: 2-line block ×4, first 2 shown]
	s_mov_b32 s0, 0x134454ff
	s_mov_b32 s1, 0xbfee6f0e
	;; [unrolled: 1-line block ×3, first 2 shown]
	s_waitcnt vmcnt(0)
	v_mul_f64 v[120:121], v[150:151], v[222:223]
	v_mul_f64 v[122:123], v[148:149], v[222:223]
	v_fma_f64 v[114:115], v[148:149], v[220:221], -v[120:121]
	v_fma_f64 v[116:117], v[150:151], v[220:221], v[122:123]
	ds_write_b128 v196, v[84:87] offset:2048
	ds_write_b128 v196, v[88:91] offset:2816
	;; [unrolled: 1-line block ×8, first 2 shown]
	s_waitcnt lgkmcnt(0)
	; wave barrier
	s_waitcnt lgkmcnt(0)
	ds_read_b128 v[108:111], v240
	ds_read_b128 v[148:151], v196 offset:256
	ds_read_b128 v[120:123], v196 offset:1536
	ds_read_b128 v[156:159], v196 offset:1792
	ds_read_b128 v[124:127], v196 offset:3072
	ds_read_b128 v[160:163], v196 offset:3328
	ds_read_b128 v[128:131], v196 offset:4608
	ds_read_b128 v[164:167], v196 offset:4864
	ds_read_b128 v[132:135], v196 offset:6144
	ds_read_b128 v[168:171], v196 offset:6400
	ds_read_b128 v[136:139], v196 offset:768
	ds_read_b128 v[100:103], v196 offset:512
	ds_read_b128 v[152:155], v196 offset:1024
	ds_read_b128 v[84:87], v196 offset:1280
	ds_read_b128 v[140:143], v196 offset:2304
	s_waitcnt lgkmcnt(8)
	v_add_f64 v[90:91], v[124:125], v[128:129]
	s_waitcnt lgkmcnt(6)
	v_add_f64 v[212:213], v[120:121], v[132:133]
	v_add_f64 v[88:89], v[108:109], v[120:121]
	v_add_f64 v[204:205], v[122:123], -v[134:135]
	v_add_f64 v[210:211], v[126:127], -v[130:131]
	;; [unrolled: 1-line block ×5, first 2 shown]
	v_fma_f64 v[198:199], v[90:91], -0.5, v[108:109]
	v_fma_f64 v[108:109], v[212:213], -0.5, v[108:109]
	v_add_f64 v[191:192], v[88:89], v[124:125]
	v_add_f64 v[220:221], v[110:111], v[122:123]
	;; [unrolled: 1-line block ×3, first 2 shown]
	ds_read_b128 v[104:107], v196 offset:2048
	v_add_f64 v[212:213], v[214:215], v[216:217]
	v_add_f64 v[216:217], v[124:125], -v[120:121]
	v_fma_f64 v[208:209], v[204:205], s[0:1], v[198:199]
	v_fma_f64 v[198:199], v[204:205], s[2:3], v[198:199]
	;; [unrolled: 1-line block ×4, first 2 shown]
	v_add_f64 v[206:207], v[191:192], v[128:129]
	v_add_f64 v[120:121], v[120:121], -v[132:133]
	v_add_f64 v[124:125], v[124:125], -v[128:129]
	ds_read_b128 v[176:179], v196 offset:2560
	ds_read_b128 v[92:95], v196 offset:2816
	;; [unrolled: 1-line block ×5, first 2 shown]
	v_fma_f64 v[208:209], v[210:211], s[14:15], v[208:209]
	v_fma_f64 v[198:199], v[210:211], s[10:11], v[198:199]
	;; [unrolled: 1-line block ×3, first 2 shown]
	v_add_f64 v[214:215], v[216:217], v[218:219]
	v_add_f64 v[216:217], v[122:123], v[134:135]
	v_fma_f64 v[108:109], v[204:205], s[10:11], v[108:109]
	v_add_f64 v[204:205], v[220:221], v[126:127]
	v_fma_f64 v[218:219], v[222:223], -0.5, v[110:111]
	v_add_f64 v[206:207], v[206:207], v[132:133]
	v_fma_f64 v[208:209], v[212:213], s[8:9], v[208:209]
	v_fma_f64 v[198:199], v[212:213], s[8:9], v[198:199]
	;; [unrolled: 1-line block ×3, first 2 shown]
	v_fma_f64 v[110:111], v[216:217], -0.5, v[110:111]
	v_fma_f64 v[212:213], v[214:215], s[8:9], v[108:109]
	v_add_f64 v[108:109], v[204:205], v[130:131]
	v_fma_f64 v[128:129], v[120:121], s[2:3], v[218:219]
	v_add_f64 v[132:133], v[122:123], -v[126:127]
	v_add_f64 v[204:205], v[134:135], -v[130:131]
	v_fma_f64 v[214:215], v[120:121], s[0:1], v[218:219]
	v_add_f64 v[122:123], v[126:127], -v[122:123]
	v_add_f64 v[126:127], v[130:131], -v[134:135]
	s_waitcnt lgkmcnt(6)
	v_add_f64 v[130:131], v[136:137], v[140:141]
	v_fma_f64 v[216:217], v[124:125], s[0:1], v[110:111]
	v_fma_f64 v[128:129], v[124:125], s[10:11], v[128:129]
	;; [unrolled: 1-line block ×3, first 2 shown]
	v_add_f64 v[132:133], v[132:133], v[204:205]
	v_fma_f64 v[204:205], v[124:125], s[14:15], v[214:215]
	ds_read_b128 v[96:99], v196 offset:4352
	ds_read_b128 v[184:187], v196 offset:5376
	;; [unrolled: 1-line block ×5, first 2 shown]
	s_waitcnt lgkmcnt(7)
	v_add_f64 v[124:125], v[130:131], v[144:145]
	s_waitcnt lgkmcnt(3)
	v_add_f64 v[218:219], v[144:145], v[184:185]
	v_fma_f64 v[214:215], v[120:121], s[10:11], v[216:217]
	v_add_f64 v[122:123], v[122:123], v[126:127]
	v_add_f64 v[216:217], v[108:109], v[134:135]
	v_fma_f64 v[108:109], v[120:121], s[14:15], v[110:111]
	v_add_f64 v[120:121], v[146:147], v[186:187]
	ds_read_b128 v[191:194], v196 offset:6912
	ds_read_b128 v[200:203], v196 offset:7168
	v_add_f64 v[110:111], v[124:125], v[184:185]
	v_fma_f64 v[126:127], v[218:219], -0.5, v[136:137]
	v_fma_f64 v[218:219], v[132:133], s[8:9], v[128:129]
	s_waitcnt lgkmcnt(1)
	v_add_f64 v[130:131], v[142:143], -v[193:194]
	v_fma_f64 v[204:205], v[132:133], s[8:9], v[204:205]
	v_fma_f64 v[214:215], v[122:123], s[8:9], v[214:215]
	v_add_f64 v[132:133], v[140:141], -v[144:145]
	v_add_f64 v[134:135], v[191:192], -v[184:185]
	v_fma_f64 v[220:221], v[122:123], s[8:9], v[108:109]
	v_add_f64 v[108:109], v[140:141], v[191:192]
	v_add_f64 v[222:223], v[110:111], v[191:192]
	v_fma_f64 v[110:111], v[120:121], -0.5, v[138:139]
	v_add_f64 v[120:121], v[140:141], -v[191:192]
	v_add_f64 v[122:123], v[142:143], v[193:194]
	v_fma_f64 v[124:125], v[130:131], s[0:1], v[126:127]
	v_add_f64 v[128:129], v[146:147], -v[186:187]
	v_add_f64 v[132:133], v[132:133], v[134:135]
	v_fma_f64 v[126:127], v[130:131], s[2:3], v[126:127]
	v_fma_f64 v[108:109], v[108:109], -0.5, v[136:137]
	v_add_f64 v[134:135], v[144:145], -v[140:141]
	v_add_f64 v[136:137], v[138:139], v[142:143]
	v_fma_f64 v[140:141], v[120:121], s[2:3], v[110:111]
	v_fma_f64 v[122:123], v[122:123], -0.5, v[138:139]
	v_add_f64 v[138:139], v[144:145], -v[184:185]
	v_add_f64 v[144:145], v[142:143], -v[146:147]
	;; [unrolled: 1-line block ×3, first 2 shown]
	v_fma_f64 v[124:125], v[128:129], s[14:15], v[124:125]
	v_add_f64 v[142:143], v[146:147], -v[142:143]
	v_fma_f64 v[126:127], v[128:129], s[10:11], v[126:127]
	v_add_f64 v[136:137], v[136:137], v[146:147]
	v_fma_f64 v[146:147], v[128:129], s[2:3], v[108:109]
	v_add_f64 v[184:185], v[184:185], -v[191:192]
	v_fma_f64 v[108:109], v[128:129], s[0:1], v[108:109]
	v_fma_f64 v[128:129], v[138:139], s[10:11], v[140:141]
	v_add_f64 v[140:141], v[144:145], v[224:225]
	v_fma_f64 v[144:145], v[138:139], s[0:1], v[122:123]
	v_add_f64 v[191:192], v[186:187], -v[193:194]
	v_fma_f64 v[122:123], v[138:139], s[2:3], v[122:123]
	v_fma_f64 v[146:147], v[130:131], s[14:15], v[146:147]
	;; [unrolled: 1-line block ×7, first 2 shown]
	v_add_f64 v[142:143], v[142:143], v[191:192]
	v_fma_f64 v[120:121], v[120:121], s[14:15], v[122:123]
	v_add_f64 v[134:135], v[134:135], v[184:185]
	v_add_f64 v[122:123], v[136:137], v[186:187]
	v_fma_f64 v[110:111], v[138:139], s[14:15], v[110:111]
	v_fma_f64 v[126:127], v[132:133], s[8:9], v[126:127]
	v_mul_f64 v[136:137], v[128:129], s[14:15]
	v_fma_f64 v[130:131], v[142:143], s[8:9], v[130:131]
	v_fma_f64 v[120:121], v[142:143], s[8:9], v[120:121]
	;; [unrolled: 1-line block ×4, first 2 shown]
	v_add_f64 v[142:143], v[122:123], v[193:194]
	v_fma_f64 v[110:111], v[140:141], s[8:9], v[110:111]
	v_fma_f64 v[140:141], v[124:125], s[16:17], v[136:137]
	v_mul_f64 v[124:125], v[124:125], s[10:11]
	v_mul_f64 v[122:123], v[130:131], s[0:1]
	;; [unrolled: 1-line block ×4, first 2 shown]
	v_add_f64 v[108:109], v[206:207], v[222:223]
	v_mul_f64 v[120:121], v[120:121], s[18:19]
	v_mul_f64 v[138:139], v[110:111], s[14:15]
	;; [unrolled: 1-line block ×3, first 2 shown]
	v_fma_f64 v[186:187], v[128:129], s[16:17], v[124:125]
	v_fma_f64 v[144:145], v[132:133], s[8:9], v[122:123]
	;; [unrolled: 1-line block ×4, first 2 shown]
	v_add_f64 v[124:125], v[206:207], -v[222:223]
	v_add_f64 v[206:207], v[148:149], v[156:157]
	v_fma_f64 v[184:185], v[126:127], s[20:21], v[138:139]
	v_add_f64 v[222:223], v[160:161], v[164:165]
	v_add_f64 v[136:137], v[208:209], v[140:141]
	;; [unrolled: 1-line block ×4, first 2 shown]
	v_add_f64 v[232:233], v[210:211], -v[144:145]
	v_add_f64 v[144:145], v[212:213], -v[146:147]
	v_add_f64 v[146:147], v[156:157], v[168:169]
	v_fma_f64 v[193:194], v[134:135], s[2:3], v[120:121]
	v_add_f64 v[120:121], v[198:199], v[184:185]
	v_add_f64 v[138:139], v[218:219], v[186:187]
	v_add_f64 v[236:237], v[208:209], -v[140:141]
	v_add_f64 v[140:141], v[198:199], -v[184:185]
	v_add_f64 v[184:185], v[206:207], v[160:161]
	v_fma_f64 v[198:199], v[222:223], -0.5, v[148:149]
	v_add_f64 v[206:207], v[158:159], -v[170:171]
	v_add_f64 v[238:239], v[218:219], -v[186:187]
	;; [unrolled: 1-line block ×3, first 2 shown]
	v_fma_f64 v[148:149], v[146:147], -0.5, v[148:149]
	v_fma_f64 v[224:225], v[126:127], s[10:11], v[110:111]
	v_add_f64 v[134:135], v[214:215], v[191:192]
	v_add_f64 v[234:235], v[214:215], -v[191:192]
	v_add_f64 v[110:111], v[216:217], v[142:143]
	v_fma_f64 v[191:192], v[206:207], s[0:1], v[198:199]
	v_fma_f64 v[198:199], v[206:207], s[2:3], v[198:199]
	v_add_f64 v[130:131], v[220:221], v[193:194]
	v_fma_f64 v[208:209], v[186:187], s[2:3], v[148:149]
	v_add_f64 v[122:123], v[204:205], v[224:225]
	v_add_f64 v[126:127], v[216:217], -v[142:143]
	v_add_f64 v[146:147], v[220:221], -v[193:194]
	;; [unrolled: 1-line block ×7, first 2 shown]
	v_fma_f64 v[148:149], v[186:187], s[0:1], v[148:149]
	v_fma_f64 v[191:192], v[186:187], s[14:15], v[191:192]
	v_add_f64 v[214:215], v[162:163], v[166:167]
	v_fma_f64 v[186:187], v[186:187], s[10:11], v[198:199]
	v_fma_f64 v[198:199], v[206:207], s[14:15], v[208:209]
	v_add_f64 v[208:209], v[158:159], v[170:171]
	v_add_f64 v[184:185], v[184:185], v[164:165]
	;; [unrolled: 1-line block ×4, first 2 shown]
	v_fma_f64 v[148:149], v[206:207], s[10:11], v[148:149]
	v_add_f64 v[206:207], v[150:151], v[158:159]
	v_fma_f64 v[210:211], v[214:215], -0.5, v[150:151]
	v_add_f64 v[156:157], v[156:157], -v[168:169]
	v_add_f64 v[160:161], v[160:161], -v[164:165]
	v_fma_f64 v[150:151], v[208:209], -0.5, v[150:151]
	v_add_f64 v[184:185], v[184:185], v[168:169]
	v_fma_f64 v[191:192], v[193:194], s[8:9], v[191:192]
	v_fma_f64 v[186:187], v[193:194], s[8:9], v[186:187]
	;; [unrolled: 1-line block ×4, first 2 shown]
	v_add_f64 v[148:149], v[206:207], v[162:163]
	v_fma_f64 v[164:165], v[156:157], s[2:3], v[210:211]
	v_add_f64 v[168:169], v[158:159], -v[162:163]
	v_add_f64 v[204:205], v[170:171], -v[166:167]
	v_fma_f64 v[206:207], v[156:157], s[0:1], v[210:211]
	v_fma_f64 v[208:209], v[160:161], s[0:1], v[150:151]
	v_add_f64 v[158:159], v[162:163], -v[158:159]
	v_add_f64 v[162:163], v[166:167], -v[170:171]
	v_fma_f64 v[150:151], v[160:161], s[2:3], v[150:151]
	v_add_f64 v[148:149], v[148:149], v[166:167]
	v_add_f64 v[166:167], v[180:181], v[172:173]
	v_fma_f64 v[164:165], v[160:161], s[10:11], v[164:165]
	v_add_f64 v[168:169], v[168:169], v[204:205]
	v_fma_f64 v[160:161], v[160:161], s[14:15], v[206:207]
	v_fma_f64 v[204:205], v[156:157], s[10:11], v[208:209]
	v_add_f64 v[158:159], v[158:159], v[162:163]
	v_fma_f64 v[150:151], v[156:157], s[14:15], v[150:151]
	v_add_f64 v[206:207], v[148:149], v[170:171]
	v_fma_f64 v[148:149], v[166:167], -0.5, v[152:153]
	s_waitcnt lgkmcnt(0)
	v_add_f64 v[156:157], v[178:179], -v[202:203]
	v_add_f64 v[162:163], v[152:153], v[176:177]
	v_fma_f64 v[210:211], v[168:169], s[8:9], v[160:161]
	v_add_f64 v[160:161], v[176:177], v[200:201]
	v_fma_f64 v[208:209], v[168:169], s[8:9], v[164:165]
	v_fma_f64 v[212:213], v[158:159], s[8:9], v[150:151]
	v_add_f64 v[150:151], v[182:183], v[174:175]
	v_fma_f64 v[204:205], v[158:159], s[8:9], v[204:205]
	v_fma_f64 v[158:159], v[156:157], s[0:1], v[148:149]
	v_add_f64 v[164:165], v[182:183], -v[174:175]
	v_add_f64 v[166:167], v[176:177], -v[180:181]
	;; [unrolled: 1-line block ×3, first 2 shown]
	v_fma_f64 v[148:149], v[156:157], s[2:3], v[148:149]
	v_fma_f64 v[152:153], v[160:161], -0.5, v[152:153]
	v_add_f64 v[160:161], v[162:163], v[180:181]
	v_add_f64 v[162:163], v[178:179], v[202:203]
	v_fma_f64 v[150:151], v[150:151], -0.5, v[154:155]
	v_add_f64 v[170:171], v[176:177], -v[200:201]
	v_fma_f64 v[158:159], v[164:165], s[14:15], v[158:159]
	v_add_f64 v[166:167], v[166:167], v[168:169]
	v_fma_f64 v[148:149], v[164:165], s[10:11], v[148:149]
	v_fma_f64 v[168:169], v[164:165], s[2:3], v[152:153]
	v_add_f64 v[214:215], v[154:155], v[178:179]
	v_fma_f64 v[154:155], v[162:163], -0.5, v[154:155]
	v_add_f64 v[162:163], v[180:181], -v[172:173]
	v_fma_f64 v[216:217], v[170:171], s[2:3], v[150:151]
	v_add_f64 v[176:177], v[180:181], -v[176:177]
	v_fma_f64 v[164:165], v[164:165], s[0:1], v[152:153]
	v_add_f64 v[152:153], v[178:179], -v[182:183]
	v_add_f64 v[180:181], v[202:203], -v[174:175]
	;; [unrolled: 1-line block ×3, first 2 shown]
	v_add_f64 v[182:183], v[214:215], v[182:183]
	v_fma_f64 v[214:215], v[162:163], s[0:1], v[154:155]
	v_add_f64 v[218:219], v[174:175], -v[202:203]
	v_fma_f64 v[216:217], v[162:163], s[10:11], v[216:217]
	v_fma_f64 v[150:151], v[170:171], s[0:1], v[150:151]
	;; [unrolled: 1-line block ×3, first 2 shown]
	v_add_f64 v[180:181], v[152:153], v[180:181]
	v_add_f64 v[160:161], v[160:161], v[172:173]
	v_add_f64 v[172:173], v[172:173], -v[200:201]
	v_fma_f64 v[214:215], v[170:171], s[10:11], v[214:215]
	v_add_f64 v[178:179], v[178:179], v[218:219]
	v_fma_f64 v[158:159], v[166:167], s[8:9], v[158:159]
	v_fma_f64 v[150:151], v[162:163], s[14:15], v[150:151]
	;; [unrolled: 1-line block ×4, first 2 shown]
	v_add_f64 v[200:201], v[160:161], v[200:201]
	v_fma_f64 v[160:161], v[156:157], s[14:15], v[168:169]
	v_add_f64 v[168:169], v[176:177], v[172:173]
	v_fma_f64 v[156:157], v[156:157], s[10:11], v[164:165]
	v_add_f64 v[164:165], v[182:183], v[174:175]
	v_fma_f64 v[172:173], v[178:179], s[8:9], v[214:215]
	v_fma_f64 v[150:151], v[180:181], s[8:9], v[150:151]
	v_mul_f64 v[174:175], v[162:163], s[14:15]
	v_fma_f64 v[166:167], v[166:167], s[8:9], v[148:149]
	v_fma_f64 v[170:171], v[178:179], s[8:9], v[170:171]
	;; [unrolled: 1-line block ×4, first 2 shown]
	v_add_f64 v[176:177], v[164:165], v[202:203]
	v_mul_f64 v[156:157], v[172:173], s[0:1]
	v_mul_f64 v[178:179], v[150:151], s[14:15]
	v_fma_f64 v[180:181], v[158:159], s[16:17], v[174:175]
	v_mul_f64 v[158:159], v[158:159], s[10:11]
	v_mul_f64 v[164:165], v[170:171], s[0:1]
	;; [unrolled: 1-line block ×5, first 2 shown]
	v_fma_f64 v[182:183], v[160:161], s[8:9], v[156:157]
	v_fma_f64 v[214:215], v[166:167], s[20:21], v[178:179]
	v_add_f64 v[222:223], v[116:117], v[112:113]
	v_fma_f64 v[178:179], v[162:163], s[16:17], v[158:159]
	ds_read_b128 v[152:155], v196 offset:6656
	v_add_f64 v[148:149], v[184:185], v[200:201]
	v_fma_f64 v[202:203], v[168:169], s[18:19], v[164:165]
	v_add_f64 v[156:157], v[191:192], v[180:181]
	v_fma_f64 v[216:217], v[160:161], s[2:3], v[172:173]
	v_fma_f64 v[218:219], v[168:169], s[2:3], v[170:171]
	;; [unrolled: 1-line block ×3, first 2 shown]
	v_add_f64 v[160:161], v[193:194], v[182:183]
	v_add_f64 v[150:151], v[206:207], v[176:177]
	;; [unrolled: 1-line block ×3, first 2 shown]
	v_add_f64 v[172:173], v[184:185], -v[200:201]
	v_add_f64 v[174:175], v[206:207], -v[176:177]
	v_add_f64 v[200:201], v[100:101], v[104:105]
	v_add_f64 v[176:177], v[191:192], -v[180:181]
	v_add_f64 v[180:181], v[193:194], -v[182:183]
	s_waitcnt lgkmcnt(0)
	v_add_f64 v[182:183], v[104:105], v[152:153]
	v_fma_f64 v[206:207], v[222:223], -0.5, v[100:101]
	v_add_f64 v[178:179], v[208:209], -v[178:179]
	v_add_f64 v[208:209], v[106:107], -v[154:155]
	v_add_f64 v[164:165], v[198:199], v[202:203]
	v_add_f64 v[168:169], v[186:187], v[214:215]
	;; [unrolled: 1-line block ×4, first 2 shown]
	v_add_f64 v[184:185], v[198:199], -v[202:203]
	v_add_f64 v[191:192], v[186:187], -v[214:215]
	v_add_f64 v[198:199], v[200:201], v[116:117]
	v_add_f64 v[200:201], v[118:119], -v[114:115]
	v_fma_f64 v[100:101], v[182:183], -0.5, v[100:101]
	v_add_f64 v[182:183], v[204:205], -v[216:217]
	v_add_f64 v[186:187], v[212:213], -v[218:219]
	v_fma_f64 v[202:203], v[208:209], s[0:1], v[206:207]
	v_add_f64 v[204:205], v[104:105], -v[116:117]
	v_add_f64 v[212:213], v[152:153], -v[112:113]
	v_fma_f64 v[206:207], v[208:209], s[2:3], v[206:207]
	v_add_f64 v[214:215], v[116:117], -v[104:105]
	v_add_f64 v[216:217], v[112:113], -v[152:153]
	v_add_f64 v[170:171], v[210:211], v[220:221]
	v_add_f64 v[193:194], v[210:211], -v[220:221]
	v_fma_f64 v[210:211], v[200:201], s[2:3], v[100:101]
	v_fma_f64 v[100:101], v[200:201], s[0:1], v[100:101]
	v_fma_f64 v[202:203], v[200:201], s[14:15], v[202:203]
	v_add_f64 v[204:205], v[204:205], v[212:213]
	v_add_f64 v[212:213], v[118:119], v[114:115]
	v_fma_f64 v[200:201], v[200:201], s[10:11], v[206:207]
	v_add_f64 v[206:207], v[106:107], v[154:155]
	v_add_f64 v[214:215], v[214:215], v[216:217]
	;; [unrolled: 1-line block ×4, first 2 shown]
	v_add_f64 v[104:105], v[104:105], -v[152:153]
	v_add_f64 v[218:219], v[106:107], -v[118:119]
	v_fma_f64 v[212:213], v[212:213], -0.5, v[102:103]
	v_add_f64 v[106:107], v[118:119], -v[106:107]
	v_fma_f64 v[206:207], v[206:207], -0.5, v[102:103]
	v_add_f64 v[112:113], v[116:117], -v[112:113]
	v_add_f64 v[118:119], v[216:217], v[118:119]
	v_add_f64 v[198:199], v[198:199], v[152:153]
	v_fma_f64 v[216:217], v[204:205], s[8:9], v[202:203]
	v_fma_f64 v[204:205], v[204:205], s[8:9], v[200:201]
	;; [unrolled: 1-line block ×3, first 2 shown]
	v_add_f64 v[152:153], v[154:155], -v[114:115]
	v_fma_f64 v[200:201], v[104:105], s[0:1], v[212:213]
	v_fma_f64 v[202:203], v[112:113], s[0:1], v[206:207]
	v_add_f64 v[118:119], v[118:119], v[114:115]
	v_add_f64 v[114:115], v[114:115], -v[154:155]
	v_fma_f64 v[206:207], v[112:113], s[2:3], v[206:207]
	v_fma_f64 v[210:211], v[208:209], s[14:15], v[210:211]
	;; [unrolled: 1-line block ×4, first 2 shown]
	v_add_f64 v[212:213], v[96:97], v[88:89]
	v_add_f64 v[152:153], v[218:219], v[152:153]
	v_fma_f64 v[112:113], v[112:113], s[14:15], v[200:201]
	v_fma_f64 v[200:201], v[104:105], s[10:11], v[202:203]
	v_add_f64 v[106:107], v[106:107], v[114:115]
	v_fma_f64 v[104:105], v[104:105], s[14:15], v[206:207]
	v_add_f64 v[114:115], v[84:85], v[92:93]
	ds_read_b128 v[100:103], v196 offset:7424
	v_fma_f64 v[210:211], v[214:215], s[8:9], v[210:211]
	v_fma_f64 v[208:209], v[214:215], s[8:9], v[208:209]
	v_add_f64 v[118:119], v[118:119], v[154:155]
	v_fma_f64 v[154:155], v[212:213], -0.5, v[84:85]
	s_waitcnt lgkmcnt(0)
	v_add_f64 v[202:203], v[94:95], -v[102:103]
	v_fma_f64 v[206:207], v[152:153], s[8:9], v[116:117]
	v_fma_f64 v[212:213], v[152:153], s[8:9], v[112:113]
	v_add_f64 v[112:113], v[92:93], v[100:101]
	v_add_f64 v[116:117], v[98:99], v[90:91]
	v_add_f64 v[152:153], v[92:93], -v[96:97]
	v_add_f64 v[214:215], v[100:101], -v[88:89]
	v_fma_f64 v[218:219], v[106:107], s[8:9], v[200:201]
	v_add_f64 v[200:201], v[94:95], v[102:103]
	v_fma_f64 v[106:107], v[106:107], s[8:9], v[104:105]
	v_add_f64 v[104:105], v[114:115], v[96:97]
	v_add_f64 v[114:115], v[86:87], v[94:95]
	v_fma_f64 v[84:85], v[112:113], -0.5, v[84:85]
	v_fma_f64 v[112:113], v[116:117], -0.5, v[86:87]
	v_add_f64 v[116:117], v[152:153], v[214:215]
	v_add_f64 v[214:215], v[98:99], -v[90:91]
	v_fma_f64 v[86:87], v[200:201], -0.5, v[86:87]
	v_add_f64 v[200:201], v[94:95], -v[98:99]
	v_add_f64 v[94:95], v[98:99], -v[94:95]
	v_add_f64 v[98:99], v[114:115], v[98:99]
	v_fma_f64 v[114:115], v[202:203], s[0:1], v[154:155]
	v_fma_f64 v[154:155], v[202:203], s[2:3], v[154:155]
	v_add_f64 v[152:153], v[92:93], -v[100:101]
	v_fma_f64 v[220:221], v[214:215], s[2:3], v[84:85]
	v_fma_f64 v[84:85], v[214:215], s[0:1], v[84:85]
	v_add_f64 v[92:93], v[96:97], -v[92:93]
	v_add_f64 v[96:97], v[96:97], -v[88:89]
	v_fma_f64 v[114:115], v[214:215], s[14:15], v[114:115]
	v_fma_f64 v[154:155], v[214:215], s[10:11], v[154:155]
	v_add_f64 v[214:215], v[102:103], -v[90:91]
	v_fma_f64 v[222:223], v[152:153], s[2:3], v[112:113]
	v_fma_f64 v[112:113], v[152:153], s[0:1], v[112:113]
	;; [unrolled: 1-line block ×3, first 2 shown]
	; wave barrier
	v_add_f64 v[200:201], v[200:201], v[214:215]
	v_add_f64 v[214:215], v[90:91], -v[102:103]
	v_add_f64 v[90:91], v[98:99], v[90:91]
	v_fma_f64 v[98:99], v[116:117], s[8:9], v[154:155]
	v_add_f64 v[94:95], v[94:95], v[214:215]
	v_fma_f64 v[214:215], v[96:97], s[0:1], v[86:87]
	v_fma_f64 v[86:87], v[96:97], s[2:3], v[86:87]
	v_add_f64 v[90:91], v[90:91], v[102:103]
	v_fma_f64 v[214:215], v[152:153], s[10:11], v[214:215]
	v_fma_f64 v[86:87], v[152:153], s[14:15], v[86:87]
	;; [unrolled: 1-line block ×4, first 2 shown]
	v_add_f64 v[112:113], v[88:89], -v[100:101]
	v_add_f64 v[88:89], v[104:105], v[88:89]
	v_fma_f64 v[86:87], v[94:95], s[8:9], v[86:87]
	v_fma_f64 v[104:105], v[200:201], s[8:9], v[152:153]
	v_add_f64 v[92:93], v[92:93], v[112:113]
	v_add_f64 v[88:89], v[88:89], v[100:101]
	v_fma_f64 v[100:101], v[116:117], s[8:9], v[114:115]
	v_fma_f64 v[112:113], v[202:203], s[14:15], v[220:221]
	;; [unrolled: 1-line block ×4, first 2 shown]
	v_mul_f64 v[96:97], v[104:105], s[14:15]
	v_mul_f64 v[102:103], v[86:87], s[0:1]
	v_fma_f64 v[84:85], v[92:93], s[8:9], v[84:85]
	v_mul_f64 v[86:87], v[86:87], s[18:19]
	v_fma_f64 v[152:153], v[92:93], s[8:9], v[112:113]
	v_mul_f64 v[92:93], v[114:115], s[0:1]
	v_mul_f64 v[114:115], v[114:115], s[8:9]
	v_fma_f64 v[96:97], v[100:101], s[16:17], v[96:97]
	v_mul_f64 v[100:101], v[100:101], s[10:11]
	v_mul_f64 v[116:117], v[94:95], s[14:15]
	;; [unrolled: 1-line block ×3, first 2 shown]
	v_fma_f64 v[102:103], v[84:85], s[18:19], v[102:103]
	v_fma_f64 v[226:227], v[84:85], s[2:3], v[86:87]
	;; [unrolled: 1-line block ×4, first 2 shown]
	v_add_f64 v[112:113], v[198:199], v[88:89]
	v_fma_f64 v[222:223], v[104:105], s[16:17], v[100:101]
	v_fma_f64 v[220:221], v[98:99], s[20:21], v[116:117]
	v_fma_f64 v[228:229], v[98:99], s[10:11], v[94:95]
	v_add_f64 v[116:117], v[216:217], v[96:97]
	v_add_f64 v[114:115], v[118:119], v[90:91]
	v_add_f64 v[152:153], v[210:211], v[214:215]
	v_add_f64 v[90:91], v[118:119], -v[90:91]
	v_add_f64 v[154:155], v[218:219], v[224:225]
	v_add_f64 v[118:119], v[206:207], v[222:223]
	v_add_f64 v[200:201], v[208:209], v[102:103]
	v_add_f64 v[88:89], v[198:199], -v[88:89]
	;; [unrolled: 4-line block ×3, first 2 shown]
	v_add_f64 v[96:97], v[210:211], -v[214:215]
	v_add_f64 v[100:101], v[208:209], -v[102:103]
	;; [unrolled: 1-line block ×7, first 2 shown]
	ds_write_b128 v188, v[108:111]
	ds_write_b128 v188, v[136:139] offset:16
	ds_write_b128 v188, v[132:135] offset:32
	ds_write_b128 v188, v[128:131] offset:48
	ds_write_b128 v188, v[120:123] offset:64
	ds_write_b128 v188, v[124:127] offset:80
	ds_write_b128 v188, v[236:239] offset:96
	ds_write_b128 v188, v[232:235] offset:112
	ds_write_b128 v188, v[144:147] offset:128
	ds_write_b128 v188, v[140:143] offset:144
	ds_write_b128 v189, v[148:151]
	ds_write_b128 v189, v[156:159] offset:16
	ds_write_b128 v189, v[160:163] offset:32
	ds_write_b128 v189, v[164:167] offset:48
	ds_write_b128 v189, v[168:171] offset:64
	ds_write_b128 v189, v[172:175] offset:80
	ds_write_b128 v189, v[176:179] offset:96
	ds_write_b128 v189, v[180:183] offset:112
	ds_write_b128 v189, v[184:187] offset:128
	ds_write_b128 v189, v[191:194] offset:144
	ds_write_b128 v190, v[112:115]
	ds_write_b128 v190, v[116:119] offset:16
	ds_write_b128 v190, v[152:155] offset:32
	ds_write_b128 v190, v[200:203] offset:48
	ds_write_b128 v190, v[84:87] offset:64
	ds_write_b128 v190, v[88:91] offset:80
	ds_write_b128 v190, v[92:95] offset:96
	ds_write_b128 v190, v[96:99] offset:112
	ds_write_b128 v190, v[100:103] offset:128
	ds_write_b128 v190, v[104:107] offset:144
	s_waitcnt lgkmcnt(0)
	; wave barrier
	s_waitcnt lgkmcnt(0)
	ds_read_b128 v[116:119], v240
	ds_read_b128 v[112:115], v196 offset:256
	ds_read_b128 v[188:191], v196 offset:1920
	;; [unrolled: 1-line block ×23, first 2 shown]
	s_and_saveexec_b64 s[0:1], vcc
	s_cbranch_execz .LBB0_7
; %bb.6:
	ds_read_b128 v[84:87], v196 offset:768
	ds_read_b128 v[88:91], v196 offset:1728
	;; [unrolled: 1-line block ×7, first 2 shown]
	s_waitcnt lgkmcnt(0)
	buffer_store_dword v198, off, s[24:27], 0 offset:4 ; 4-byte Folded Spill
	s_nop 0
	buffer_store_dword v199, off, s[24:27], 0 offset:8 ; 4-byte Folded Spill
	buffer_store_dword v200, off, s[24:27], 0 offset:12 ; 4-byte Folded Spill
	;; [unrolled: 1-line block ×3, first 2 shown]
	ds_read_b128 v[198:201], v196 offset:7488
	s_waitcnt lgkmcnt(0)
	buffer_store_dword v198, off, s[24:27], 0 offset:20 ; 4-byte Folded Spill
	s_nop 0
	buffer_store_dword v199, off, s[24:27], 0 offset:24 ; 4-byte Folded Spill
	buffer_store_dword v200, off, s[24:27], 0 offset:28 ; 4-byte Folded Spill
	;; [unrolled: 1-line block ×3, first 2 shown]
.LBB0_7:
	s_or_b64 exec, exec, s[0:1]
	buffer_load_dword v200, off, s[24:27], 0 offset:656 ; 4-byte Folded Reload
	buffer_load_dword v201, off, s[24:27], 0 offset:660 ; 4-byte Folded Reload
	;; [unrolled: 1-line block ×4, first 2 shown]
	s_mov_b32 s0, 0x667f3bcd
	s_mov_b32 s1, 0xbfe6a09e
	;; [unrolled: 1-line block ×4, first 2 shown]
	s_waitcnt vmcnt(0) lgkmcnt(14)
	v_mul_f64 v[198:199], v[202:203], v[194:195]
	v_fma_f64 v[198:199], v[200:201], v[192:193], v[198:199]
	v_mul_f64 v[192:193], v[202:203], v[192:193]
	v_fma_f64 v[192:193], v[200:201], v[194:195], -v[192:193]
	buffer_load_dword v200, off, s[24:27], 0 offset:640 ; 4-byte Folded Reload
	buffer_load_dword v201, off, s[24:27], 0 offset:644 ; 4-byte Folded Reload
	;; [unrolled: 1-line block ×4, first 2 shown]
	s_waitcnt vmcnt(0)
	v_mul_f64 v[194:195], v[202:203], v[190:191]
	v_fma_f64 v[194:195], v[200:201], v[188:189], v[194:195]
	v_mul_f64 v[188:189], v[202:203], v[188:189]
	v_fma_f64 v[188:189], v[200:201], v[190:191], -v[188:189]
	buffer_load_dword v200, off, s[24:27], 0 offset:608 ; 4-byte Folded Reload
	buffer_load_dword v201, off, s[24:27], 0 offset:612 ; 4-byte Folded Reload
	;; [unrolled: 1-line block ×4, first 2 shown]
	s_waitcnt vmcnt(0) lgkmcnt(11)
	v_mul_f64 v[190:191], v[202:203], v[186:187]
	v_fma_f64 v[190:191], v[200:201], v[184:185], v[190:191]
	v_mul_f64 v[184:185], v[202:203], v[184:185]
	buffer_load_dword v202, off, s[24:27], 0 offset:592 ; 4-byte Folded Reload
	buffer_load_dword v203, off, s[24:27], 0 offset:596 ; 4-byte Folded Reload
	;; [unrolled: 1-line block ×8, first 2 shown]
	v_fma_f64 v[184:185], v[200:201], v[186:187], -v[184:185]
	s_waitcnt vmcnt(4)
	v_mul_f64 v[186:187], v[204:205], v[234:235]
	v_mul_f64 v[200:201], v[204:205], v[232:233]
	s_waitcnt vmcnt(0) lgkmcnt(7)
	v_mul_f64 v[204:205], v[208:209], v[236:237]
	v_fma_f64 v[186:187], v[202:203], v[232:233], v[186:187]
	v_fma_f64 v[200:201], v[202:203], v[234:235], -v[200:201]
	v_mul_f64 v[202:203], v[208:209], v[238:239]
	buffer_load_dword v208, off, s[24:27], 0 offset:688 ; 4-byte Folded Reload
	buffer_load_dword v209, off, s[24:27], 0 offset:692 ; 4-byte Folded Reload
	;; [unrolled: 1-line block ×4, first 2 shown]
	v_fma_f64 v[204:205], v[206:207], v[238:239], -v[204:205]
	v_fma_f64 v[202:203], v[206:207], v[236:237], v[202:203]
	s_waitcnt vmcnt(0)
	v_mul_f64 v[206:207], v[210:211], v[182:183]
	v_fma_f64 v[206:207], v[208:209], v[180:181], v[206:207]
	v_mul_f64 v[180:181], v[210:211], v[180:181]
	v_fma_f64 v[180:181], v[208:209], v[182:183], -v[180:181]
	buffer_load_dword v208, off, s[24:27], 0 offset:624 ; 4-byte Folded Reload
	buffer_load_dword v209, off, s[24:27], 0 offset:628 ; 4-byte Folded Reload
	;; [unrolled: 1-line block ×4, first 2 shown]
	s_waitcnt vmcnt(0) lgkmcnt(3)
	v_mul_f64 v[182:183], v[210:211], v[178:179]
	v_fma_f64 v[182:183], v[208:209], v[176:177], v[182:183]
	v_mul_f64 v[176:177], v[210:211], v[176:177]
	v_fma_f64 v[176:177], v[208:209], v[178:179], -v[176:177]
	buffer_load_dword v208, off, s[24:27], 0 offset:784 ; 4-byte Folded Reload
	buffer_load_dword v209, off, s[24:27], 0 offset:788 ; 4-byte Folded Reload
	buffer_load_dword v210, off, s[24:27], 0 offset:792 ; 4-byte Folded Reload
	buffer_load_dword v211, off, s[24:27], 0 offset:796 ; 4-byte Folded Reload
	s_waitcnt vmcnt(0)
	v_mul_f64 v[178:179], v[210:211], v[174:175]
	v_fma_f64 v[178:179], v[208:209], v[172:173], v[178:179]
	v_mul_f64 v[172:173], v[210:211], v[172:173]
	v_fma_f64 v[172:173], v[208:209], v[174:175], -v[172:173]
	buffer_load_dword v208, off, s[24:27], 0 offset:768 ; 4-byte Folded Reload
	buffer_load_dword v209, off, s[24:27], 0 offset:772 ; 4-byte Folded Reload
	buffer_load_dword v210, off, s[24:27], 0 offset:776 ; 4-byte Folded Reload
	buffer_load_dword v211, off, s[24:27], 0 offset:780 ; 4-byte Folded Reload
	s_waitcnt vmcnt(0)
	;; [unrolled: 9-line block ×4, first 2 shown]
	v_mul_f64 v[170:171], v[210:211], v[158:159]
	v_fma_f64 v[170:171], v[208:209], v[156:157], v[170:171]
	v_mul_f64 v[156:157], v[210:211], v[156:157]
	v_fma_f64 v[156:157], v[208:209], v[158:159], -v[156:157]
	buffer_load_dword v208, off, s[24:27], 0 offset:800 ; 4-byte Folded Reload
	buffer_load_dword v209, off, s[24:27], 0 offset:804 ; 4-byte Folded Reload
	;; [unrolled: 1-line block ×4, first 2 shown]
	v_add_f64 v[156:157], v[114:115], -v[156:157]
	v_fma_f64 v[114:115], v[114:115], 2.0, -v[156:157]
	s_waitcnt vmcnt(0)
	v_mul_f64 v[158:159], v[210:211], v[162:163]
	v_fma_f64 v[158:159], v[208:209], v[160:161], v[158:159]
	v_mul_f64 v[160:161], v[210:211], v[160:161]
	v_add_f64 v[158:159], v[178:179], -v[158:159]
	v_fma_f64 v[160:161], v[208:209], v[162:163], -v[160:161]
	buffer_load_dword v208, off, s[24:27], 0 offset:752 ; 4-byte Folded Reload
	buffer_load_dword v209, off, s[24:27], 0 offset:756 ; 4-byte Folded Reload
	;; [unrolled: 1-line block ×4, first 2 shown]
	v_add_f64 v[160:161], v[172:173], -v[160:161]
	v_fma_f64 v[172:173], v[172:173], 2.0, -v[160:161]
	s_waitcnt vmcnt(0)
	v_mul_f64 v[162:163], v[210:211], v[150:151]
	v_fma_f64 v[162:163], v[208:209], v[148:149], v[162:163]
	v_mul_f64 v[148:149], v[210:211], v[148:149]
	buffer_load_dword v210, off, s[24:27], 0 offset:720 ; 4-byte Folded Reload
	buffer_load_dword v211, off, s[24:27], 0 offset:724 ; 4-byte Folded Reload
	;; [unrolled: 1-line block ×4, first 2 shown]
	v_add_f64 v[162:163], v[174:175], -v[162:163]
	v_fma_f64 v[150:151], v[208:209], v[150:151], -v[148:149]
	v_add_f64 v[150:151], v[164:165], -v[150:151]
	v_fma_f64 v[164:165], v[164:165], 2.0, -v[150:151]
	s_waitcnt vmcnt(0) lgkmcnt(1)
	v_mul_f64 v[148:149], v[212:213], v[154:155]
	v_fma_f64 v[208:209], v[210:211], v[152:153], v[148:149]
	v_mul_f64 v[148:149], v[212:213], v[152:153]
	v_fma_f64 v[152:153], v[210:211], v[154:155], -v[148:149]
	buffer_load_dword v210, off, s[24:27], 0 offset:912 ; 4-byte Folded Reload
	buffer_load_dword v211, off, s[24:27], 0 offset:916 ; 4-byte Folded Reload
	;; [unrolled: 1-line block ×8, first 2 shown]
	v_add_f64 v[152:153], v[168:169], -v[152:153]
	v_fma_f64 v[168:169], v[168:169], 2.0, -v[152:153]
	v_add_f64 v[168:169], v[172:173], -v[168:169]
	s_waitcnt vmcnt(4)
	v_mul_f64 v[148:149], v[212:213], v[146:147]
	v_fma_f64 v[148:149], v[210:211], v[144:145], v[148:149]
	v_mul_f64 v[144:145], v[212:213], v[144:145]
	v_fma_f64 v[210:211], v[210:211], v[146:147], -v[144:145]
	s_waitcnt vmcnt(0)
	v_mul_f64 v[144:145], v[216:217], v[142:143]
	v_fma_f64 v[212:213], v[214:215], v[140:141], v[144:145]
	v_mul_f64 v[140:141], v[216:217], v[140:141]
	v_fma_f64 v[214:215], v[214:215], v[142:143], -v[140:141]
	buffer_load_dword v142, off, s[24:27], 0 offset:848 ; 4-byte Folded Reload
	buffer_load_dword v143, off, s[24:27], 0 offset:852 ; 4-byte Folded Reload
	;; [unrolled: 1-line block ×4, first 2 shown]
	s_waitcnt vmcnt(0)
	v_mul_f64 v[140:141], v[144:145], v[138:139]
	v_fma_f64 v[216:217], v[142:143], v[136:137], v[140:141]
	v_mul_f64 v[136:137], v[144:145], v[136:137]
	v_fma_f64 v[218:219], v[142:143], v[138:139], -v[136:137]
	buffer_load_dword v138, off, s[24:27], 0 offset:816 ; 4-byte Folded Reload
	buffer_load_dword v139, off, s[24:27], 0 offset:820 ; 4-byte Folded Reload
	;; [unrolled: 1-line block ×4, first 2 shown]
	v_add_f64 v[142:143], v[184:185], -v[176:177]
	v_fma_f64 v[146:147], v[184:185], 2.0, -v[142:143]
	s_waitcnt vmcnt(0)
	v_mul_f64 v[136:137], v[140:141], v[134:135]
	v_fma_f64 v[220:221], v[138:139], v[132:133], v[136:137]
	v_mul_f64 v[132:133], v[140:141], v[132:133]
	v_add_f64 v[140:141], v[190:191], -v[182:183]
	v_fma_f64 v[222:223], v[138:139], v[134:135], -v[132:133]
	buffer_load_dword v134, off, s[24:27], 0 offset:896 ; 4-byte Folded Reload
	buffer_load_dword v135, off, s[24:27], 0 offset:900 ; 4-byte Folded Reload
	;; [unrolled: 1-line block ×4, first 2 shown]
	v_fma_f64 v[144:145], v[190:191], 2.0, -v[140:141]
	s_waitcnt vmcnt(0)
	v_mul_f64 v[132:133], v[136:137], v[130:131]
	v_fma_f64 v[224:225], v[134:135], v[128:129], v[132:133]
	v_mul_f64 v[128:129], v[136:137], v[128:129]
	v_fma_f64 v[226:227], v[134:135], v[130:131], -v[128:129]
	buffer_load_dword v130, off, s[24:27], 0 offset:864 ; 4-byte Folded Reload
	buffer_load_dword v131, off, s[24:27], 0 offset:868 ; 4-byte Folded Reload
	;; [unrolled: 1-line block ×4, first 2 shown]
	v_add_f64 v[134:135], v[192:193], -v[204:205]
	v_fma_f64 v[138:139], v[192:193], 2.0, -v[134:135]
	v_add_f64 v[190:191], v[134:135], -v[140:141]
	v_add_f64 v[192:193], v[210:211], -v[226:227]
	;; [unrolled: 1-line block ×3, first 2 shown]
	s_waitcnt vmcnt(0)
	v_mul_f64 v[128:129], v[132:133], v[126:127]
	v_fma_f64 v[228:229], v[130:131], v[124:125], v[128:129]
	v_mul_f64 v[124:125], v[132:133], v[124:125]
	v_add_f64 v[132:133], v[198:199], -v[202:203]
	v_fma_f64 v[230:231], v[130:131], v[126:127], -v[124:125]
	buffer_load_dword v126, off, s[24:27], 0 offset:832 ; 4-byte Folded Reload
	buffer_load_dword v127, off, s[24:27], 0 offset:836 ; 4-byte Folded Reload
	;; [unrolled: 1-line block ×4, first 2 shown]
	v_fma_f64 v[136:137], v[198:199], 2.0, -v[132:133]
	s_waitcnt lgkmcnt(0)
	; wave barrier
	s_waitcnt lgkmcnt(0)
	v_add_f64 v[144:145], v[136:137], -v[144:145]
	s_waitcnt vmcnt(0)
	v_mul_f64 v[124:125], v[128:129], v[122:123]
	v_fma_f64 v[232:233], v[126:127], v[120:121], v[124:125]
	v_mul_f64 v[120:121], v[128:129], v[120:121]
	v_add_f64 v[124:125], v[194:195], -v[206:207]
	v_add_f64 v[198:199], v[216:217], -v[232:233]
	v_fma_f64 v[234:235], v[126:127], v[122:123], -v[120:121]
	v_add_f64 v[120:121], v[116:117], -v[186:187]
	v_add_f64 v[122:123], v[118:119], -v[200:201]
	;; [unrolled: 1-line block ×3, first 2 shown]
	v_fma_f64 v[128:129], v[194:195], 2.0, -v[124:125]
	v_fma_f64 v[194:195], v[210:211], 2.0, -v[192:193]
	;; [unrolled: 1-line block ×3, first 2 shown]
	v_add_f64 v[200:201], v[218:219], -v[234:235]
	v_fma_f64 v[116:117], v[116:117], 2.0, -v[120:121]
	v_fma_f64 v[118:119], v[118:119], 2.0, -v[122:123]
	;; [unrolled: 1-line block ×3, first 2 shown]
	v_add_f64 v[180:181], v[120:121], v[126:127]
	v_add_f64 v[182:183], v[122:123], -v[124:125]
	v_add_f64 v[188:189], v[132:133], v[142:143]
	v_fma_f64 v[124:125], v[134:135], 2.0, -v[190:191]
	v_fma_f64 v[204:205], v[218:219], 2.0, -v[200:201]
	v_add_f64 v[154:155], v[116:117], -v[128:129]
	v_add_f64 v[176:177], v[118:119], -v[130:131]
	v_fma_f64 v[184:185], v[120:121], 2.0, -v[180:181]
	v_fma_f64 v[186:187], v[122:123], 2.0, -v[182:183]
	;; [unrolled: 1-line block ×3, first 2 shown]
	v_fma_f64 v[132:133], v[188:189], s[2:3], v[180:181]
	v_fma_f64 v[134:135], v[190:191], s[2:3], v[182:183]
	v_fma_f64 v[128:129], v[116:117], 2.0, -v[154:155]
	v_fma_f64 v[116:117], v[136:137], 2.0, -v[144:145]
	;; [unrolled: 1-line block ×4, first 2 shown]
	v_add_f64 v[204:205], v[194:195], -v[204:205]
	v_fma_f64 v[132:133], v[190:191], s[2:3], v[132:133]
	v_fma_f64 v[134:135], v[188:189], s[0:1], v[134:135]
	v_add_f64 v[190:191], v[148:149], -v[224:225]
	v_add_f64 v[116:117], v[128:129], -v[116:117]
	;; [unrolled: 1-line block ×3, first 2 shown]
	v_fma_f64 v[148:149], v[148:149], 2.0, -v[190:191]
	v_fma_f64 v[120:121], v[128:129], 2.0, -v[116:117]
	v_fma_f64 v[128:129], v[126:127], s[0:1], v[184:185]
	v_fma_f64 v[122:123], v[130:131], 2.0, -v[118:119]
	v_fma_f64 v[130:131], v[124:125], s[0:1], v[186:187]
	v_add_f64 v[202:203], v[148:149], -v[202:203]
	v_fma_f64 v[124:125], v[124:125], s[2:3], v[128:129]
	v_add_f64 v[128:129], v[154:155], v[146:147]
	v_fma_f64 v[126:127], v[126:127], s[0:1], v[130:131]
	v_add_f64 v[130:131], v[176:177], -v[144:145]
	v_fma_f64 v[144:145], v[180:181], 2.0, -v[132:133]
	v_fma_f64 v[146:147], v[182:183], 2.0, -v[134:135]
	;; [unrolled: 1-line block ×4, first 2 shown]
	v_add_f64 v[154:155], v[112:113], -v[170:171]
	v_fma_f64 v[142:143], v[176:177], 2.0, -v[130:131]
	v_add_f64 v[176:177], v[166:167], -v[208:209]
	v_fma_f64 v[170:171], v[174:175], 2.0, -v[162:163]
	v_fma_f64 v[174:175], v[178:179], 2.0, -v[158:159]
	v_add_f64 v[178:179], v[114:115], -v[164:165]
	v_add_f64 v[184:185], v[156:157], -v[162:163]
	v_fma_f64 v[138:139], v[186:187], 2.0, -v[126:127]
	v_fma_f64 v[112:113], v[112:113], 2.0, -v[154:155]
	v_add_f64 v[182:183], v[154:155], v[150:151]
	v_fma_f64 v[166:167], v[166:167], 2.0, -v[176:177]
	v_fma_f64 v[180:181], v[114:115], 2.0, -v[178:179]
	;; [unrolled: 1-line block ×3, first 2 shown]
	v_add_f64 v[172:173], v[158:159], v[152:153]
	v_add_f64 v[170:171], v[112:113], -v[170:171]
	v_fma_f64 v[162:163], v[154:155], 2.0, -v[182:183]
	v_add_f64 v[166:167], v[174:175], -v[166:167]
	v_fma_f64 v[186:187], v[156:157], 2.0, -v[184:185]
	;; [unrolled: 2-line block ×3, first 2 shown]
	v_fma_f64 v[164:165], v[112:113], 2.0, -v[170:171]
	v_fma_f64 v[112:113], v[174:175], 2.0, -v[166:167]
	v_add_f64 v[174:175], v[160:161], -v[176:177]
	v_fma_f64 v[152:153], v[180:181], 2.0, -v[114:115]
	v_fma_f64 v[158:159], v[156:157], s[0:1], v[162:163]
	v_add_f64 v[180:181], v[110:111], -v[222:223]
	v_add_f64 v[112:113], v[164:165], -v[112:113]
	v_fma_f64 v[154:155], v[160:161], 2.0, -v[174:175]
	v_fma_f64 v[176:177], v[174:175], s[2:3], v[184:185]
	v_fma_f64 v[110:111], v[110:111], 2.0, -v[180:181]
	v_fma_f64 v[150:151], v[164:165], 2.0, -v[112:113]
	v_fma_f64 v[160:161], v[154:155], s[0:1], v[186:187]
	v_fma_f64 v[154:155], v[154:155], s[2:3], v[158:159]
	v_add_f64 v[164:165], v[178:179], -v[166:167]
	v_fma_f64 v[156:157], v[156:157], s[0:1], v[160:161]
	v_fma_f64 v[158:159], v[162:163], 2.0, -v[154:155]
	v_add_f64 v[162:163], v[170:171], v[168:169]
	v_fma_f64 v[168:169], v[178:179], 2.0, -v[164:165]
	v_add_f64 v[178:179], v[108:109], -v[220:221]
	v_fma_f64 v[160:161], v[186:187], 2.0, -v[156:157]
	v_fma_f64 v[166:167], v[170:171], 2.0, -v[162:163]
	v_fma_f64 v[170:171], v[172:173], s[2:3], v[182:183]
	v_fma_f64 v[172:173], v[172:173], s[0:1], v[176:177]
	v_fma_f64 v[108:109], v[108:109], 2.0, -v[178:179]
	v_fma_f64 v[170:171], v[174:175], s[2:3], v[170:171]
	v_fma_f64 v[176:177], v[184:185], 2.0, -v[172:173]
	v_add_f64 v[184:185], v[214:215], -v[230:231]
	v_fma_f64 v[174:175], v[182:183], 2.0, -v[170:171]
	v_add_f64 v[182:183], v[212:213], -v[228:229]
	v_fma_f64 v[188:189], v[214:215], 2.0, -v[184:185]
	v_add_f64 v[210:211], v[178:179], v[184:185]
	v_fma_f64 v[186:187], v[212:213], 2.0, -v[182:183]
	v_add_f64 v[208:209], v[110:111], -v[188:189]
	v_add_f64 v[212:213], v[180:181], -v[182:183]
	v_fma_f64 v[214:215], v[178:179], 2.0, -v[210:211]
	v_add_f64 v[206:207], v[108:109], -v[186:187]
	v_fma_f64 v[188:189], v[110:111], 2.0, -v[208:209]
	v_fma_f64 v[110:111], v[194:195], 2.0, -v[204:205]
	v_add_f64 v[194:195], v[192:193], -v[198:199]
	v_fma_f64 v[216:217], v[180:181], 2.0, -v[212:213]
	v_fma_f64 v[186:187], v[108:109], 2.0, -v[206:207]
	;; [unrolled: 1-line block ×3, first 2 shown]
	v_add_f64 v[148:149], v[190:191], v[200:201]
	v_fma_f64 v[182:183], v[192:193], 2.0, -v[194:195]
	v_add_f64 v[110:111], v[188:189], -v[110:111]
	v_add_f64 v[192:193], v[208:209], -v[202:203]
	;; [unrolled: 1-line block ×3, first 2 shown]
	v_fma_f64 v[184:185], v[190:191], 2.0, -v[148:149]
	v_add_f64 v[190:191], v[206:207], v[204:205]
	v_fma_f64 v[198:199], v[148:149], s[2:3], v[210:211]
	v_fma_f64 v[180:181], v[188:189], 2.0, -v[110:111]
	v_fma_f64 v[188:189], v[182:183], s[0:1], v[216:217]
	v_fma_f64 v[202:203], v[208:209], 2.0, -v[192:193]
	v_fma_f64 v[178:179], v[186:187], 2.0, -v[108:109]
	v_fma_f64 v[186:187], v[184:185], s[0:1], v[214:215]
	v_fma_f64 v[200:201], v[206:207], 2.0, -v[190:191]
	v_fma_f64 v[206:207], v[194:195], s[2:3], v[212:213]
	v_fma_f64 v[204:205], v[194:195], s[2:3], v[198:199]
	;; [unrolled: 1-line block ×5, first 2 shown]
	buffer_load_dword v148, off, s[24:27], 0 offset:928 ; 4-byte Folded Reload
	v_fma_f64 v[188:189], v[216:217], 2.0, -v[184:185]
	v_fma_f64 v[208:209], v[210:211], 2.0, -v[204:205]
	s_waitcnt vmcnt(0)
	ds_write_b128 v148, v[120:123]
	ds_write_b128 v148, v[136:139] offset:160
	ds_write_b128 v148, v[140:143] offset:320
	ds_write_b128 v148, v[144:147] offset:480
	ds_write_b128 v148, v[116:119] offset:640
	ds_write_b128 v148, v[124:127] offset:800
	ds_write_b128 v148, v[128:131] offset:960
	ds_write_b128 v148, v[132:135] offset:1120
	buffer_load_dword v116, off, s[24:27], 0 offset:996 ; 4-byte Folded Reload
	v_fma_f64 v[186:187], v[214:215], 2.0, -v[182:183]
	v_fma_f64 v[210:211], v[212:213], 2.0, -v[206:207]
	s_waitcnt vmcnt(0)
	ds_write_b128 v116, v[150:153]
	ds_write_b128 v116, v[158:161] offset:160
	ds_write_b128 v116, v[166:169] offset:320
	;; [unrolled: 1-line block ×7, first 2 shown]
	ds_write_b128 v197, v[178:181]
	ds_write_b128 v197, v[186:189] offset:160
	ds_write_b128 v197, v[200:203] offset:320
	;; [unrolled: 1-line block ×7, first 2 shown]
	s_and_saveexec_b64 s[8:9], vcc
	s_cbranch_execz .LBB0_9
; %bb.8:
	buffer_load_dword v126, off, s[24:27], 0 offset:1000 ; 4-byte Folded Reload
	buffer_load_dword v127, off, s[24:27], 0 offset:1004 ; 4-byte Folded Reload
	;; [unrolled: 1-line block ×36, first 2 shown]
	s_waitcnt vmcnt(32)
	v_mul_f64 v[108:109], v[128:129], v[100:101]
	s_waitcnt vmcnt(28)
	v_mul_f64 v[110:111], v[136:137], v[94:95]
	;; [unrolled: 2-line block ×7, first 2 shown]
	v_mul_f64 v[122:123], v[140:141], v[90:91]
	v_fma_f64 v[108:109], v[126:127], v[102:103], -v[108:109]
	v_fma_f64 v[110:111], v[134:135], v[92:93], v[110:111]
	v_mul_f64 v[92:93], v[136:137], v[92:93]
	v_fma_f64 v[90:91], v[138:139], v[90:91], -v[114:115]
	v_fma_f64 v[114:115], v[150:151], v[106:107], -v[116:117]
	v_fma_f64 v[116:117], v[130:131], v[96:97], v[118:119]
	v_mul_f64 v[118:119], v[148:149], v[154:155]
	v_mul_f64 v[106:107], v[152:153], v[106:107]
	;; [unrolled: 1-line block ×5, first 2 shown]
	v_fma_f64 v[112:113], v[146:147], v[154:155], v[112:113]
	v_fma_f64 v[120:121], v[142:143], v[158:159], v[120:121]
	;; [unrolled: 1-line block ×3, first 2 shown]
	v_fma_f64 v[92:93], v[134:135], v[94:95], -v[92:93]
	v_fma_f64 v[94:95], v[146:147], v[156:157], -v[118:119]
	v_fma_f64 v[104:105], v[150:151], v[104:105], v[106:107]
	v_fma_f64 v[100:101], v[126:127], v[100:101], v[102:103]
	v_fma_f64 v[96:97], v[130:131], v[98:99], -v[96:97]
	v_fma_f64 v[98:99], v[142:143], v[160:161], -v[124:125]
	v_add_f64 v[108:109], v[86:87], -v[108:109]
	v_add_f64 v[112:113], v[110:111], -v[112:113]
	v_add_f64 v[106:107], v[90:91], -v[114:115]
	v_add_f64 v[102:103], v[116:117], -v[120:121]
	v_add_f64 v[94:95], v[92:93], -v[94:95]
	v_add_f64 v[104:105], v[88:89], -v[104:105]
	v_add_f64 v[100:101], v[84:85], -v[100:101]
	v_add_f64 v[98:99], v[96:97], -v[98:99]
	v_fma_f64 v[86:87], v[86:87], 2.0, -v[108:109]
	v_add_f64 v[114:115], v[108:109], -v[112:113]
	v_fma_f64 v[90:91], v[90:91], 2.0, -v[106:107]
	v_add_f64 v[118:119], v[106:107], -v[102:103]
	v_fma_f64 v[92:93], v[92:93], 2.0, -v[94:95]
	v_fma_f64 v[88:89], v[88:89], 2.0, -v[104:105]
	;; [unrolled: 1-line block ×6, first 2 shown]
	v_add_f64 v[98:99], v[98:99], v[104:105]
	v_add_f64 v[116:117], v[94:95], v[100:101]
	v_add_f64 v[112:113], v[86:87], -v[92:93]
	v_fma_f64 v[108:109], v[108:109], 2.0, -v[114:115]
	v_fma_f64 v[92:93], v[106:107], 2.0, -v[118:119]
	v_add_f64 v[94:95], v[88:89], -v[102:103]
	v_add_f64 v[102:103], v[90:91], -v[96:97]
	v_add_f64 v[120:121], v[84:85], -v[110:111]
	v_fma_f64 v[96:97], v[104:105], 2.0, -v[98:99]
	v_fma_f64 v[100:101], v[100:101], 2.0, -v[116:117]
	v_fma_f64 v[126:127], v[98:99], s[2:3], v[116:117]
	v_fma_f64 v[104:105], v[118:119], s[2:3], v[114:115]
	;; [unrolled: 1-line block ×3, first 2 shown]
	v_fma_f64 v[122:123], v[86:87], 2.0, -v[112:113]
	v_fma_f64 v[110:111], v[90:91], 2.0, -v[102:103]
	;; [unrolled: 1-line block ×4, first 2 shown]
	v_fma_f64 v[88:89], v[96:97], s[0:1], v[100:101]
	v_add_f64 v[90:91], v[112:113], -v[94:95]
	v_fma_f64 v[86:87], v[98:99], s[0:1], v[104:105]
	v_fma_f64 v[94:95], v[96:97], s[0:1], v[106:107]
	s_movk_i32 s0, 0x50
	v_add_f64 v[98:99], v[122:123], -v[110:111]
	v_add_f64 v[96:97], v[124:125], -v[84:85]
	v_fma_f64 v[92:93], v[92:93], s[2:3], v[88:89]
	v_fma_f64 v[84:85], v[118:119], s[2:3], v[126:127]
	v_add_f64 v[88:89], v[120:121], v[102:103]
	v_fma_f64 v[110:111], v[108:109], 2.0, -v[94:95]
	v_fma_f64 v[102:103], v[114:115], 2.0, -v[86:87]
	;; [unrolled: 1-line block ×7, first 2 shown]
	buffer_load_dword v116, off, s[24:27], 0 offset:584 ; 4-byte Folded Reload
	buffer_load_dword v117, off, s[24:27], 0 offset:588 ; 4-byte Folded Reload
	v_fma_f64 v[104:105], v[120:121], 2.0, -v[88:89]
	s_waitcnt vmcnt(1)
	v_mul_u32_u24_sdwa v116, v116, s0 dst_sel:DWORD dst_unused:UNUSED_PAD src0_sel:BYTE_1 src1_sel:DWORD
	s_waitcnt vmcnt(0)
	v_or_b32_e32 v116, v116, v117
	buffer_load_dword v117, off, s[24:27], 0 ; 4-byte Folded Reload
	s_waitcnt vmcnt(0)
	v_add_lshl_u32 v116, v117, v116, 4
	ds_write_b128 v116, v[112:115]
	ds_write_b128 v116, v[108:111] offset:160
	ds_write_b128 v116, v[104:107] offset:320
	;; [unrolled: 1-line block ×7, first 2 shown]
.LBB0_9:
	s_or_b64 exec, exec, s[8:9]
	s_waitcnt lgkmcnt(0)
	; wave barrier
	s_waitcnt lgkmcnt(0)
	ds_read_b128 v[88:91], v196 offset:1280
	ds_read_b128 v[84:87], v196 offset:1024
	buffer_load_dword v110, off, s[24:27], 0 offset:980 ; 4-byte Folded Reload
	buffer_load_dword v111, off, s[24:27], 0 offset:984 ; 4-byte Folded Reload
	;; [unrolled: 1-line block ×4, first 2 shown]
	ds_read_b128 v[92:95], v196 offset:2560
	ds_read_b128 v[96:99], v196 offset:2816
	buffer_load_dword v114, off, s[24:27], 0 offset:964 ; 4-byte Folded Reload
	buffer_load_dword v115, off, s[24:27], 0 offset:968 ; 4-byte Folded Reload
	;; [unrolled: 1-line block ×4, first 2 shown]
	s_mov_b32 s0, 0xe8584caa
	s_mov_b32 s1, 0xbfebb67a
	;; [unrolled: 1-line block ×4, first 2 shown]
	s_waitcnt vmcnt(4) lgkmcnt(3)
	v_mul_f64 v[100:101], v[112:113], v[90:91]
	v_mul_f64 v[102:103], v[112:113], v[88:89]
	s_waitcnt vmcnt(0) lgkmcnt(1)
	v_mul_f64 v[104:105], v[116:117], v[94:95]
	v_mul_f64 v[106:107], v[116:117], v[92:93]
	v_fma_f64 v[108:109], v[110:111], v[88:89], v[100:101]
	v_fma_f64 v[110:111], v[110:111], v[90:91], -v[102:103]
	ds_read_b128 v[88:91], v196 offset:3840
	ds_read_b128 v[100:103], v196 offset:3584
	buffer_load_dword v118, off, s[24:27], 0 offset:948 ; 4-byte Folded Reload
	buffer_load_dword v119, off, s[24:27], 0 offset:952 ; 4-byte Folded Reload
	buffer_load_dword v120, off, s[24:27], 0 offset:956 ; 4-byte Folded Reload
	buffer_load_dword v121, off, s[24:27], 0 offset:960 ; 4-byte Folded Reload
	v_fma_f64 v[112:113], v[114:115], v[92:93], v[104:105]
	v_fma_f64 v[114:115], v[114:115], v[94:95], -v[106:107]
	ds_read_b128 v[92:95], v196 offset:5120
	s_waitcnt vmcnt(0) lgkmcnt(2)
	v_mul_f64 v[104:105], v[120:121], v[90:91]
	v_mul_f64 v[106:107], v[120:121], v[88:89]
	v_fma_f64 v[116:117], v[118:119], v[88:89], v[104:105]
	v_fma_f64 v[118:119], v[118:119], v[90:91], -v[106:107]
	ds_read_b128 v[88:91], v196 offset:5376
	buffer_load_dword v122, off, s[24:27], 0 offset:932 ; 4-byte Folded Reload
	buffer_load_dword v123, off, s[24:27], 0 offset:936 ; 4-byte Folded Reload
	;; [unrolled: 1-line block ×4, first 2 shown]
	s_waitcnt vmcnt(0) lgkmcnt(1)
	v_mul_f64 v[104:105], v[124:125], v[94:95]
	v_mul_f64 v[106:107], v[124:125], v[92:93]
	v_fma_f64 v[120:121], v[122:123], v[92:93], v[104:105]
	v_fma_f64 v[122:123], v[122:123], v[94:95], -v[106:107]
	ds_read_b128 v[92:95], v196 offset:6400
	ds_read_b128 v[104:107], v196 offset:6144
	s_waitcnt lgkmcnt(1)
	v_mul_f64 v[124:125], v[2:3], v[94:95]
	v_mul_f64 v[2:3], v[2:3], v[92:93]
	v_fma_f64 v[124:125], v[0:1], v[92:93], v[124:125]
	v_fma_f64 v[126:127], v[0:1], v[94:95], -v[2:3]
	ds_read_b128 v[0:3], v196 offset:1536
	ds_read_b128 v[92:95], v196 offset:1792
	s_waitcnt lgkmcnt(1)
	v_mul_f64 v[128:129], v[18:19], v[2:3]
	v_fma_f64 v[128:129], v[16:17], v[0:1], v[128:129]
	v_mul_f64 v[0:1], v[18:19], v[0:1]
	v_mul_f64 v[18:19], v[58:59], v[104:105]
	v_fma_f64 v[130:131], v[16:17], v[2:3], -v[0:1]
	v_mul_f64 v[0:1], v[14:15], v[98:99]
	v_fma_f64 v[132:133], v[12:13], v[96:97], v[0:1]
	v_mul_f64 v[0:1], v[14:15], v[96:97]
	v_fma_f64 v[96:97], v[12:13], v[98:99], -v[0:1]
	ds_read_b128 v[0:3], v196 offset:4096
	ds_read_b128 v[12:15], v196 offset:4352
	s_waitcnt lgkmcnt(1)
	v_mul_f64 v[16:17], v[10:11], v[2:3]
	v_fma_f64 v[98:99], v[8:9], v[0:1], v[16:17]
	v_mul_f64 v[0:1], v[10:11], v[0:1]
	v_fma_f64 v[134:135], v[8:9], v[2:3], -v[0:1]
	v_mul_f64 v[0:1], v[6:7], v[90:91]
	v_fma_f64 v[136:137], v[4:5], v[88:89], v[0:1]
	v_mul_f64 v[0:1], v[6:7], v[88:89]
	v_fma_f64 v[88:89], v[4:5], v[90:91], -v[0:1]
	ds_read_b128 v[0:3], v196 offset:6656
	ds_read_b128 v[4:7], v196 offset:6912
	s_waitcnt lgkmcnt(1)
	v_mul_f64 v[8:9], v[22:23], v[2:3]
	v_fma_f64 v[90:91], v[20:21], v[0:1], v[8:9]
	v_mul_f64 v[0:1], v[22:23], v[0:1]
	v_fma_f64 v[138:139], v[20:21], v[2:3], -v[0:1]
	v_mul_f64 v[0:1], v[38:39], v[94:95]
	v_add_f64 v[20:21], v[112:113], v[120:121]
	v_fma_f64 v[140:141], v[36:37], v[92:93], v[0:1]
	v_mul_f64 v[0:1], v[38:39], v[92:93]
	v_fma_f64 v[92:93], v[36:37], v[94:95], -v[0:1]
	ds_read_b128 v[0:3], v196 offset:3072
	ds_read_b128 v[8:11], v196 offset:3328
	s_waitcnt lgkmcnt(1)
	v_mul_f64 v[16:17], v[26:27], v[2:3]
	v_fma_f64 v[94:95], v[24:25], v[0:1], v[16:17]
	v_mul_f64 v[0:1], v[26:27], v[0:1]
	v_add_f64 v[26:27], v[108:109], v[116:117]
	v_fma_f64 v[142:143], v[24:25], v[2:3], -v[0:1]
	v_mul_f64 v[0:1], v[30:31], v[14:15]
	v_add_f64 v[26:27], v[26:27], v[124:125]
	v_fma_f64 v[144:145], v[28:29], v[12:13], v[0:1]
	v_mul_f64 v[0:1], v[30:31], v[12:13]
	v_fma_f64 v[146:147], v[28:29], v[14:15], -v[0:1]
	ds_read_b128 v[0:3], v196 offset:5632
	ds_read_b128 v[12:15], v196 offset:5888
	v_add_f64 v[28:29], v[118:119], -v[126:127]
	s_waitcnt lgkmcnt(1)
	v_mul_f64 v[16:17], v[34:35], v[2:3]
	v_fma_f64 v[148:149], v[32:33], v[0:1], v[16:17]
	v_mul_f64 v[0:1], v[34:35], v[0:1]
	v_fma_f64 v[150:151], v[32:33], v[2:3], -v[0:1]
	v_mul_f64 v[0:1], v[42:43], v[6:7]
	v_fma_f64 v[152:153], v[40:41], v[4:5], v[0:1]
	v_mul_f64 v[0:1], v[42:43], v[4:5]
	v_fma_f64 v[154:155], v[40:41], v[6:7], -v[0:1]
	ds_read_b128 v[0:3], v196 offset:2048
	ds_read_b128 v[4:7], v196 offset:2304
	s_waitcnt lgkmcnt(1)
	v_mul_f64 v[16:17], v[46:47], v[2:3]
	v_fma_f64 v[156:157], v[44:45], v[0:1], v[16:17]
	v_mul_f64 v[0:1], v[46:47], v[0:1]
	v_add_f64 v[46:47], v[128:129], v[98:99]
	v_fma_f64 v[158:159], v[44:45], v[2:3], -v[0:1]
	v_mul_f64 v[0:1], v[50:51], v[10:11]
	v_add_f64 v[46:47], v[46:47], v[90:91]
	v_fma_f64 v[160:161], v[48:49], v[8:9], v[0:1]
	v_mul_f64 v[0:1], v[50:51], v[8:9]
	v_add_f64 v[50:51], v[130:131], v[134:135]
	v_fma_f64 v[162:163], v[48:49], v[10:11], -v[0:1]
	ds_read_b128 v[0:3], v196 offset:4608
	ds_read_b128 v[8:11], v196 offset:4864
	v_add_f64 v[48:49], v[134:135], -v[138:139]
	v_add_f64 v[50:51], v[50:51], v[138:139]
	s_waitcnt lgkmcnt(1)
	v_mul_f64 v[16:17], v[54:55], v[2:3]
	v_fma_f64 v[164:165], v[52:53], v[0:1], v[16:17]
	v_mul_f64 v[0:1], v[54:55], v[0:1]
	v_fma_f64 v[166:167], v[52:53], v[2:3], -v[0:1]
	v_mul_f64 v[0:1], v[82:83], v[14:15]
	v_fma_f64 v[168:169], v[80:81], v[12:13], v[0:1]
	v_mul_f64 v[0:1], v[82:83], v[12:13]
	v_fma_f64 v[80:81], v[80:81], v[14:15], -v[0:1]
	ds_read_b128 v[0:3], v196 offset:7168
	ds_read_b128 v[12:15], v196 offset:7424
	s_waitcnt lgkmcnt(1)
	v_mul_f64 v[16:17], v[78:79], v[2:3]
	s_waitcnt lgkmcnt(0)
	v_mul_f64 v[38:39], v[62:63], v[12:13]
	v_fma_f64 v[82:83], v[76:77], v[0:1], v[16:17]
	v_mul_f64 v[0:1], v[78:79], v[0:1]
	v_mul_f64 v[16:17], v[58:59], v[106:107]
	v_fma_f64 v[106:107], v[56:57], v[106:107], -v[18:19]
	v_add_f64 v[18:19], v[118:119], v[126:127]
	v_fma_f64 v[76:77], v[76:77], v[2:3], -v[0:1]
	v_mul_f64 v[0:1], v[74:75], v[6:7]
	v_mul_f64 v[2:3], v[70:71], v[100:101]
	v_fma_f64 v[104:105], v[56:57], v[104:105], v[16:17]
	v_add_f64 v[16:17], v[114:115], v[122:123]
	v_fma_f64 v[170:171], v[72:73], v[4:5], v[0:1]
	v_mul_f64 v[0:1], v[74:75], v[4:5]
	v_fma_f64 v[172:173], v[72:73], v[6:7], -v[0:1]
	v_mul_f64 v[0:1], v[70:71], v[102:103]
	v_fma_f64 v[102:103], v[68:69], v[102:103], -v[2:3]
	v_mul_f64 v[2:3], v[66:67], v[8:9]
	v_add_f64 v[70:71], v[146:147], -v[154:155]
	v_fma_f64 v[100:101], v[68:69], v[100:101], v[0:1]
	v_mul_f64 v[0:1], v[66:67], v[10:11]
	v_fma_f64 v[176:177], v[64:65], v[10:11], -v[2:3]
	v_add_f64 v[10:11], v[114:115], -v[122:123]
	v_add_f64 v[66:67], v[94:95], v[148:149]
	v_fma_f64 v[174:175], v[64:65], v[8:9], v[0:1]
	ds_read_b128 v[0:3], v240
	ds_read_b128 v[4:7], v196 offset:256
	s_waitcnt lgkmcnt(1)
	v_fma_f64 v[8:9], v[20:21], -0.5, v[0:1]
	v_add_f64 v[0:1], v[0:1], v[112:113]
	v_fma_f64 v[20:21], v[10:11], s[0:1], v[8:9]
	v_fma_f64 v[22:23], v[10:11], s[2:3], v[8:9]
	v_add_f64 v[8:9], v[2:3], v[114:115]
	v_fma_f64 v[2:3], v[16:17], -0.5, v[2:3]
	v_add_f64 v[10:11], v[116:117], v[124:125]
	v_fma_f64 v[16:17], v[18:19], -0.5, v[110:111]
	v_add_f64 v[18:19], v[116:117], -v[124:125]
	v_add_f64 v[24:25], v[0:1], v[120:121]
	v_add_f64 v[0:1], v[112:113], -v[120:121]
	v_add_f64 v[112:113], v[166:167], -v[76:77]
	v_add_f64 v[32:33], v[8:9], v[122:123]
	v_fma_f64 v[10:11], v[10:11], -0.5, v[108:109]
	v_fma_f64 v[30:31], v[18:19], s[2:3], v[16:17]
	v_fma_f64 v[16:17], v[18:19], s[0:1], v[16:17]
	v_mul_f64 v[18:19], v[62:63], v[14:15]
	v_fma_f64 v[34:35], v[0:1], s[2:3], v[2:3]
	v_fma_f64 v[36:37], v[0:1], s[0:1], v[2:3]
	;; [unrolled: 1-line block ×4, first 2 shown]
	v_mul_f64 v[8:9], v[30:31], s[0:1]
	v_add_f64 v[28:29], v[110:111], v[118:119]
	v_mul_f64 v[10:11], v[16:17], s[0:1]
	v_mul_f64 v[30:31], v[30:31], 0.5
	v_mul_f64 v[16:17], v[16:17], -0.5
	v_fma_f64 v[108:109], v[60:61], v[12:13], v[18:19]
	v_fma_f64 v[110:111], v[60:61], v[14:15], -v[38:39]
	v_add_f64 v[38:39], v[132:133], v[136:137]
	v_fma_f64 v[40:41], v[0:1], 0.5, v[8:9]
	v_add_f64 v[18:19], v[28:29], v[126:127]
	v_fma_f64 v[42:43], v[2:3], -0.5, v[10:11]
	v_fma_f64 v[28:29], v[0:1], s[2:3], v[30:31]
	v_fma_f64 v[30:31], v[2:3], s[2:3], v[16:17]
	v_add_f64 v[0:1], v[24:25], v[26:27]
	v_add_f64 v[16:17], v[24:25], -v[26:27]
	v_add_f64 v[8:9], v[20:21], v[40:41]
	v_add_f64 v[2:3], v[32:33], v[18:19]
	v_add_f64 v[18:19], v[32:33], -v[18:19]
	s_waitcnt lgkmcnt(0)
	v_fma_f64 v[32:33], v[38:39], -0.5, v[4:5]
	v_add_f64 v[38:39], v[96:97], -v[88:89]
	v_add_f64 v[20:21], v[20:21], -v[40:41]
	v_add_f64 v[40:41], v[134:135], v[138:139]
	v_add_f64 v[12:13], v[22:23], v[42:43]
	;; [unrolled: 1-line block ×4, first 2 shown]
	v_add_f64 v[24:25], v[22:23], -v[42:43]
	v_add_f64 v[22:23], v[34:35], -v[28:29]
	v_add_f64 v[26:27], v[36:37], -v[30:31]
	v_fma_f64 v[44:45], v[38:39], s[0:1], v[32:33]
	v_add_f64 v[34:35], v[98:99], v[90:91]
	v_fma_f64 v[52:53], v[38:39], s[2:3], v[32:33]
	v_fma_f64 v[32:33], v[40:41], -0.5, v[130:131]
	v_add_f64 v[36:37], v[98:99], -v[90:91]
	v_add_f64 v[30:31], v[96:97], v[88:89]
	v_add_f64 v[38:39], v[4:5], v[132:133]
	;; [unrolled: 1-line block ×4, first 2 shown]
	v_fma_f64 v[34:35], v[34:35], -0.5, v[128:129]
	v_fma_f64 v[54:55], v[36:37], s[2:3], v[32:33]
	v_fma_f64 v[32:33], v[36:37], s[0:1], v[32:33]
	v_fma_f64 v[42:43], v[30:31], -0.5, v[6:7]
	v_add_f64 v[36:37], v[38:39], v[136:137]
	v_add_f64 v[38:39], v[132:133], -v[136:137]
	v_fma_f64 v[56:57], v[48:49], s[0:1], v[34:35]
	v_fma_f64 v[48:49], v[48:49], s[2:3], v[34:35]
	v_add_f64 v[40:41], v[28:29], v[88:89]
	v_mul_f64 v[58:59], v[54:55], s[0:1]
	v_mul_f64 v[54:55], v[54:55], 0.5
	v_mul_f64 v[60:61], v[32:33], -0.5
	v_mul_f64 v[34:35], v[32:33], s[0:1]
	v_fma_f64 v[62:63], v[38:39], s[2:3], v[42:43]
	v_fma_f64 v[64:65], v[38:39], s[0:1], v[42:43]
	ds_read_b128 v[4:7], v196 offset:512
	ds_read_b128 v[28:31], v196 offset:768
	v_add_f64 v[32:33], v[36:37], v[46:47]
	v_fma_f64 v[58:59], v[56:57], 0.5, v[58:59]
	v_fma_f64 v[54:55], v[56:57], s[2:3], v[54:55]
	v_fma_f64 v[60:61], v[48:49], s[2:3], v[60:61]
	v_fma_f64 v[56:57], v[48:49], -0.5, v[34:35]
	v_add_f64 v[34:35], v[40:41], v[50:51]
	v_add_f64 v[36:37], v[36:37], -v[46:47]
	v_add_f64 v[38:39], v[40:41], -v[50:51]
	v_add_f64 v[40:41], v[44:45], v[58:59]
	v_add_f64 v[42:43], v[62:63], v[54:55]
	v_add_f64 v[44:45], v[44:45], -v[58:59]
	v_add_f64 v[46:47], v[62:63], -v[54:55]
	v_add_f64 v[50:51], v[64:65], v[60:61]
	v_add_f64 v[54:55], v[64:65], -v[60:61]
	s_waitcnt lgkmcnt(1)
	v_fma_f64 v[58:59], v[66:67], -0.5, v[4:5]
	v_add_f64 v[60:61], v[142:143], -v[150:151]
	v_add_f64 v[48:49], v[52:53], v[56:57]
	v_add_f64 v[52:53], v[52:53], -v[56:57]
	v_add_f64 v[56:57], v[142:143], v[150:151]
	v_add_f64 v[62:63], v[6:7], v[142:143]
	v_add_f64 v[66:67], v[144:145], -v[152:153]
	v_add_f64 v[4:5], v[4:5], v[94:95]
	v_fma_f64 v[64:65], v[60:61], s[0:1], v[58:59]
	v_fma_f64 v[72:73], v[60:61], s[2:3], v[58:59]
	v_add_f64 v[60:61], v[146:147], v[154:155]
	v_fma_f64 v[6:7], v[56:57], -0.5, v[6:7]
	v_add_f64 v[56:57], v[144:145], v[152:153]
	v_add_f64 v[58:59], v[62:63], v[150:151]
	;; [unrolled: 1-line block ×4, first 2 shown]
	v_add_f64 v[4:5], v[94:95], -v[148:149]
	v_fma_f64 v[60:61], v[60:61], -0.5, v[92:93]
	v_fma_f64 v[56:57], v[56:57], -0.5, v[140:141]
	v_add_f64 v[62:63], v[62:63], v[152:153]
	v_fma_f64 v[90:91], v[4:5], s[2:3], v[6:7]
	v_fma_f64 v[68:69], v[66:67], s[2:3], v[60:61]
	;; [unrolled: 1-line block ×3, first 2 shown]
	v_add_f64 v[66:67], v[92:93], v[146:147]
	v_fma_f64 v[78:79], v[70:71], s[0:1], v[56:57]
	v_fma_f64 v[56:57], v[70:71], s[2:3], v[56:57]
	;; [unrolled: 1-line block ×3, first 2 shown]
	v_add_f64 v[4:5], v[74:75], v[62:63]
	v_mul_f64 v[88:89], v[68:69], s[0:1]
	v_mul_f64 v[68:69], v[68:69], 0.5
	v_mul_f64 v[70:71], v[60:61], s[0:1]
	v_add_f64 v[66:67], v[66:67], v[154:155]
	v_mul_f64 v[60:61], v[60:61], -0.5
	v_fma_f64 v[88:89], v[78:79], 0.5, v[88:89]
	v_fma_f64 v[68:69], v[78:79], s[2:3], v[68:69]
	v_fma_f64 v[78:79], v[56:57], -0.5, v[70:71]
	v_add_f64 v[6:7], v[58:59], v[66:67]
	v_fma_f64 v[94:95], v[56:57], s[2:3], v[60:61]
	v_add_f64 v[56:57], v[74:75], -v[62:63]
	v_add_f64 v[58:59], v[58:59], -v[66:67]
	v_add_f64 v[60:61], v[64:65], v[88:89]
	v_add_f64 v[62:63], v[90:91], v[68:69]
	v_add_f64 v[64:65], v[64:65], -v[88:89]
	v_add_f64 v[66:67], v[90:91], -v[68:69]
	s_waitcnt lgkmcnt(0)
	v_fma_f64 v[88:89], v[96:97], -0.5, v[28:29]
	v_add_f64 v[90:91], v[162:163], -v[80:81]
	v_add_f64 v[68:69], v[72:73], v[78:79]
	v_add_f64 v[70:71], v[92:93], v[94:95]
	v_add_f64 v[72:73], v[72:73], -v[78:79]
	v_add_f64 v[74:75], v[92:93], -v[94:95]
	v_add_f64 v[78:79], v[162:163], v[80:81]
	v_add_f64 v[92:93], v[30:31], v[162:163]
	v_add_f64 v[28:29], v[28:29], v[160:161]
	v_fma_f64 v[94:95], v[90:91], s[0:1], v[88:89]
	v_fma_f64 v[96:97], v[90:91], s[2:3], v[88:89]
	v_add_f64 v[88:89], v[166:167], v[76:77]
	v_add_f64 v[90:91], v[156:157], v[164:165]
	v_fma_f64 v[30:31], v[78:79], -0.5, v[30:31]
	v_add_f64 v[78:79], v[164:165], v[82:83]
	v_add_f64 v[80:81], v[92:93], v[80:81]
	v_add_f64 v[92:93], v[164:165], -v[82:83]
	v_add_f64 v[114:115], v[28:29], v[168:169]
	v_fma_f64 v[88:89], v[88:89], -0.5, v[158:159]
	v_add_f64 v[28:29], v[160:161], -v[168:169]
	v_add_f64 v[82:83], v[90:91], v[82:83]
	v_fma_f64 v[78:79], v[78:79], -0.5, v[156:157]
	v_fma_f64 v[98:99], v[92:93], s[2:3], v[88:89]
	v_fma_f64 v[88:89], v[92:93], s[0:1], v[88:89]
	v_add_f64 v[92:93], v[158:159], v[166:167]
	v_fma_f64 v[120:121], v[28:29], s[0:1], v[30:31]
	v_fma_f64 v[90:91], v[112:113], s[0:1], v[78:79]
	v_fma_f64 v[78:79], v[112:113], s[2:3], v[78:79]
	v_fma_f64 v[118:119], v[28:29], s[2:3], v[30:31]
	v_add_f64 v[28:29], v[114:115], v[82:83]
	v_mul_f64 v[116:117], v[98:99], s[0:1]
	v_mul_f64 v[98:99], v[98:99], 0.5
	v_mul_f64 v[112:113], v[88:89], s[0:1]
	v_add_f64 v[92:93], v[92:93], v[76:77]
	v_mul_f64 v[76:77], v[88:89], -0.5
	v_fma_f64 v[88:89], v[90:91], 0.5, v[116:117]
	v_fma_f64 v[90:91], v[90:91], s[2:3], v[98:99]
	v_fma_f64 v[98:99], v[78:79], -0.5, v[112:113]
	v_add_f64 v[30:31], v[80:81], v[92:93]
	v_fma_f64 v[112:113], v[78:79], s[2:3], v[76:77]
	v_add_f64 v[76:77], v[114:115], -v[82:83]
	v_add_f64 v[78:79], v[80:81], -v[92:93]
	v_add_f64 v[114:115], v[102:103], v[106:107]
	v_add_f64 v[80:81], v[94:95], v[88:89]
	v_add_f64 v[88:89], v[94:95], -v[88:89]
	v_add_f64 v[92:93], v[96:97], v[98:99]
	v_add_f64 v[96:97], v[96:97], -v[98:99]
	;; [unrolled: 2-line block ×3, first 2 shown]
	v_add_f64 v[112:113], v[100:101], v[104:105]
	v_add_f64 v[116:117], v[84:85], v[100:101]
	;; [unrolled: 1-line block ×3, first 2 shown]
	v_add_f64 v[90:91], v[118:119], -v[90:91]
	v_add_f64 v[100:101], v[100:101], -v[104:105]
	v_fma_f64 v[84:85], v[112:113], -0.5, v[84:85]
	v_fma_f64 v[112:113], v[114:115], -0.5, v[86:87]
	v_add_f64 v[86:87], v[86:87], v[102:103]
	v_add_f64 v[102:103], v[102:103], -v[106:107]
	v_add_f64 v[114:115], v[176:177], v[110:111]
	v_add_f64 v[104:105], v[116:117], v[104:105]
	v_fma_f64 v[120:121], v[100:101], s[2:3], v[112:113]
	v_fma_f64 v[122:123], v[100:101], s[0:1], v[112:113]
	;; [unrolled: 1-line block ×4, first 2 shown]
	v_add_f64 v[102:103], v[86:87], v[106:107]
	v_add_f64 v[106:107], v[170:171], v[174:175]
	v_add_f64 v[84:85], v[174:175], v[108:109]
	v_fma_f64 v[86:87], v[114:115], -0.5, v[172:173]
	v_add_f64 v[100:101], v[174:175], -v[108:109]
	v_add_f64 v[106:107], v[106:107], v[108:109]
	v_add_f64 v[108:109], v[172:173], v[176:177]
	v_fma_f64 v[84:85], v[84:85], -0.5, v[170:171]
	v_fma_f64 v[112:113], v[100:101], s[2:3], v[86:87]
	v_fma_f64 v[86:87], v[100:101], s[0:1], v[86:87]
	v_add_f64 v[100:101], v[176:177], -v[110:111]
	v_add_f64 v[108:109], v[108:109], v[110:111]
	buffer_load_dword v110, off, s[24:27], 0 offset:180 ; 4-byte Folded Reload
	buffer_load_dword v111, off, s[24:27], 0 offset:184 ; 4-byte Folded Reload
	v_mul_f64 v[124:125], v[86:87], s[0:1]
	v_fma_f64 v[114:115], v[100:101], s[0:1], v[84:85]
	v_fma_f64 v[84:85], v[100:101], s[2:3], v[84:85]
	v_mul_f64 v[100:101], v[112:113], s[0:1]
	v_mul_f64 v[112:113], v[112:113], 0.5
	v_mul_f64 v[86:87], v[86:87], -0.5
	v_fma_f64 v[124:125], v[84:85], -0.5, v[124:125]
	v_fma_f64 v[112:113], v[114:115], s[2:3], v[112:113]
	v_fma_f64 v[128:129], v[84:85], s[2:3], v[86:87]
	v_add_f64 v[84:85], v[104:105], v[106:107]
	v_add_f64 v[86:87], v[102:103], v[108:109]
	v_add_f64 v[102:103], v[102:103], -v[108:109]
	s_waitcnt vmcnt(1)
	v_mov_b32_e32 v130, v110
	s_waitcnt vmcnt(0)
	v_fma_f64 v[110:111], v[114:115], 0.5, v[100:101]
	v_add_f64 v[100:101], v[104:105], -v[106:107]
	v_add_f64 v[106:107], v[120:121], v[112:113]
	v_add_f64 v[114:115], v[122:123], v[128:129]
	v_mad_u64_u32 v[126:127], s[0:1], s6, v130, 0
	v_add_f64 v[104:105], v[116:117], v[110:111]
	v_add_f64 v[108:109], v[116:117], -v[110:111]
	v_add_f64 v[110:111], v[120:121], -v[112:113]
	v_add_f64 v[112:113], v[118:119], v[124:125]
	v_add_f64 v[116:117], v[118:119], -v[124:125]
	v_add_f64 v[118:119], v[122:123], -v[128:129]
	ds_write_b128 v240, v[0:3]
	ds_write_b128 v196, v[8:11] offset:1280
	ds_write_b128 v196, v[12:15] offset:2560
	;; [unrolled: 1-line block ×29, first 2 shown]
	s_waitcnt lgkmcnt(0)
	; wave barrier
	s_waitcnt lgkmcnt(0)
	ds_read_b128 v[4:7], v240
	ds_read_b128 v[0:3], v196 offset:256
	buffer_load_dword v14, off, s[24:27], 0 offset:240 ; 4-byte Folded Reload
	buffer_load_dword v15, off, s[24:27], 0 offset:244 ; 4-byte Folded Reload
	;; [unrolled: 1-line block ×4, first 2 shown]
	v_mov_b32_e32 v8, v127
	v_mov_b32_e32 v24, s13
	s_waitcnt vmcnt(0) lgkmcnt(1)
	v_mul_f64 v[9:10], v[16:17], v[6:7]
	v_mad_u64_u32 v[11:12], s[0:1], s7, v130, v[8:9]
	v_mul_f64 v[12:13], v[16:17], v[4:5]
	v_fma_f64 v[4:5], v[14:15], v[4:5], v[9:10]
	buffer_load_dword v9, off, s[24:27], 0 offset:188 ; 4-byte Folded Reload
	v_mov_b32_e32 v127, v11
	v_lshlrev_b64 v[18:19], 4, v[126:127]
	v_add_co_u32_e32 v25, vcc, s12, v18
	v_fma_f64 v[6:7], v[14:15], v[6:7], -v[12:13]
	v_addc_co_u32_e32 v26, vcc, v24, v19, vcc
	s_waitcnt vmcnt(0)
	v_mad_u64_u32 v[16:17], s[0:1], s4, v9, 0
	s_mov_b32 s0, 0x11111111
	s_mov_b32 s1, 0x3f611111
	v_mov_b32_e32 v8, v17
	v_mad_u64_u32 v[12:13], s[2:3], s5, v9, v[8:9]
	ds_read_b128 v[8:11], v196 offset:768
	v_mul_f64 v[4:5], v[4:5], s[0:1]
	v_mov_b32_e32 v17, v12
	ds_read_b128 v[12:15], v196 offset:512
	buffer_load_dword v27, off, s[24:27], 0 offset:36 ; 4-byte Folded Reload
	buffer_load_dword v28, off, s[24:27], 0 offset:40 ; 4-byte Folded Reload
	;; [unrolled: 1-line block ×4, first 2 shown]
	v_mul_f64 v[6:7], v[6:7], s[0:1]
	v_lshlrev_b64 v[16:17], 4, v[16:17]
	s_mul_i32 s2, s5, 0x300
	v_add_co_u32_e32 v24, vcc, v25, v16
	v_addc_co_u32_e32 v25, vcc, v26, v17, vcc
	s_mul_hi_u32 s3, s4, 0x300
	global_store_dwordx4 v[24:25], v[4:7], off
	s_add_i32 s2, s3, s2
	s_mul_i32 s3, s4, 0x300
	v_mov_b32_e32 v35, s2
	v_add_co_u32_e32 v34, vcc, s3, v24
	v_addc_co_u32_e32 v35, vcc, v25, v35, vcc
	v_mov_b32_e32 v43, s2
	v_mov_b32_e32 v51, s2
	s_mulk_i32 s5, 0xe600
	s_waitcnt vmcnt(1) lgkmcnt(1)
	v_mul_f64 v[20:21], v[29:30], v[10:11]
	v_mul_f64 v[22:23], v[29:30], v[8:9]
	v_fma_f64 v[18:19], v[27:28], v[8:9], v[20:21]
	v_fma_f64 v[20:21], v[27:28], v[10:11], -v[22:23]
	ds_read_b128 v[8:11], v196 offset:1536
	v_mul_f64 v[4:5], v[18:19], s[0:1]
	ds_read_b128 v[16:19], v196 offset:1792
	buffer_load_dword v30, off, s[24:27], 0 offset:68 ; 4-byte Folded Reload
	buffer_load_dword v31, off, s[24:27], 0 offset:72 ; 4-byte Folded Reload
	;; [unrolled: 1-line block ×4, first 2 shown]
	v_mul_f64 v[6:7], v[20:21], s[0:1]
	ds_read_b128 v[20:23], v196 offset:2304
	s_waitcnt vmcnt(0) lgkmcnt(2)
	v_mul_f64 v[26:27], v[32:33], v[10:11]
	v_mul_f64 v[28:29], v[32:33], v[8:9]
	v_fma_f64 v[26:27], v[30:31], v[8:9], v[26:27]
	v_fma_f64 v[28:29], v[30:31], v[10:11], -v[28:29]
	ds_read_b128 v[8:11], v196 offset:2048
	buffer_load_dword v36, off, s[24:27], 0 offset:52 ; 4-byte Folded Reload
	buffer_load_dword v37, off, s[24:27], 0 offset:56 ; 4-byte Folded Reload
	;; [unrolled: 1-line block ×4, first 2 shown]
	s_waitcnt vmcnt(0) lgkmcnt(1)
	v_mul_f64 v[30:31], v[38:39], v[22:23]
	v_mul_f64 v[32:33], v[38:39], v[20:21]
	global_store_dwordx4 v[34:35], v[4:7], off
	v_mov_b32_e32 v38, s2
	v_mul_f64 v[4:5], v[26:27], s[0:1]
	v_mul_f64 v[6:7], v[28:29], s[0:1]
	ds_read_b128 v[24:27], v196 offset:3072
	v_add_co_u32_e32 v34, vcc, s3, v34
	v_fma_f64 v[28:29], v[36:37], v[20:21], v[30:31]
	v_fma_f64 v[30:31], v[36:37], v[22:23], -v[32:33]
	ds_read_b128 v[20:23], v196 offset:3328
	buffer_load_dword v39, off, s[24:27], 0 offset:116 ; 4-byte Folded Reload
	buffer_load_dword v40, off, s[24:27], 0 offset:120 ; 4-byte Folded Reload
	;; [unrolled: 1-line block ×4, first 2 shown]
	v_addc_co_u32_e32 v35, vcc, v35, v38, vcc
	global_store_dwordx4 v[34:35], v[4:7], off
	s_waitcnt vmcnt(1) lgkmcnt(1)
	v_mul_f64 v[32:33], v[41:42], v[26:27]
	v_mul_f64 v[36:37], v[41:42], v[24:25]
	;; [unrolled: 1-line block ×4, first 2 shown]
	ds_read_b128 v[28:31], v196 offset:3840
	v_add_co_u32_e32 v42, vcc, s3, v34
	v_addc_co_u32_e32 v43, vcc, v35, v43, vcc
	v_fma_f64 v[32:33], v[39:40], v[24:25], v[32:33]
	v_fma_f64 v[36:37], v[39:40], v[26:27], -v[36:37]
	ds_read_b128 v[24:27], v196 offset:3584
	buffer_load_dword v44, off, s[24:27], 0 offset:84 ; 4-byte Folded Reload
	buffer_load_dword v45, off, s[24:27], 0 offset:88 ; 4-byte Folded Reload
	;; [unrolled: 1-line block ×4, first 2 shown]
	s_waitcnt vmcnt(0) lgkmcnt(1)
	v_mul_f64 v[38:39], v[46:47], v[30:31]
	v_mul_f64 v[40:41], v[46:47], v[28:29]
	global_store_dwordx4 v[42:43], v[4:7], off
	v_mov_b32_e32 v46, s2
	v_mul_f64 v[4:5], v[32:33], s[0:1]
	v_mul_f64 v[6:7], v[36:37], s[0:1]
	ds_read_b128 v[32:35], v196 offset:4608
	v_add_co_u32_e32 v42, vcc, s3, v42
	v_fma_f64 v[36:37], v[44:45], v[28:29], v[38:39]
	v_fma_f64 v[38:39], v[44:45], v[30:31], -v[40:41]
	ds_read_b128 v[28:31], v196 offset:4864
	buffer_load_dword v47, off, s[24:27], 0 offset:132 ; 4-byte Folded Reload
	buffer_load_dword v48, off, s[24:27], 0 offset:136 ; 4-byte Folded Reload
	;; [unrolled: 1-line block ×4, first 2 shown]
	v_addc_co_u32_e32 v43, vcc, v43, v46, vcc
	global_store_dwordx4 v[42:43], v[4:7], off
	s_waitcnt vmcnt(1) lgkmcnt(1)
	v_mul_f64 v[40:41], v[49:50], v[34:35]
	v_mul_f64 v[44:45], v[49:50], v[32:33]
	;; [unrolled: 1-line block ×4, first 2 shown]
	ds_read_b128 v[36:39], v196 offset:5376
	v_add_co_u32_e32 v50, vcc, s3, v42
	v_addc_co_u32_e32 v51, vcc, v43, v51, vcc
	v_fma_f64 v[40:41], v[47:48], v[32:33], v[40:41]
	v_fma_f64 v[44:45], v[47:48], v[34:35], -v[44:45]
	ds_read_b128 v[32:35], v196 offset:5120
	buffer_load_dword v52, off, s[24:27], 0 offset:100 ; 4-byte Folded Reload
	buffer_load_dword v53, off, s[24:27], 0 offset:104 ; 4-byte Folded Reload
	;; [unrolled: 1-line block ×4, first 2 shown]
	s_waitcnt vmcnt(0) lgkmcnt(1)
	v_mul_f64 v[46:47], v[54:55], v[38:39]
	v_mul_f64 v[48:49], v[54:55], v[36:37]
	global_store_dwordx4 v[50:51], v[4:7], off
	v_mov_b32_e32 v54, s2
	v_mul_f64 v[4:5], v[40:41], s[0:1]
	v_mul_f64 v[6:7], v[44:45], s[0:1]
	ds_read_b128 v[40:43], v196 offset:6144
	v_add_co_u32_e32 v50, vcc, s3, v50
	v_fma_f64 v[44:45], v[52:53], v[36:37], v[46:47]
	v_fma_f64 v[46:47], v[52:53], v[38:39], -v[48:49]
	ds_read_b128 v[36:39], v196 offset:6400
	buffer_load_dword v55, off, s[24:27], 0 offset:164 ; 4-byte Folded Reload
	buffer_load_dword v56, off, s[24:27], 0 offset:168 ; 4-byte Folded Reload
	;; [unrolled: 1-line block ×4, first 2 shown]
	v_addc_co_u32_e32 v51, vcc, v51, v54, vcc
	global_store_dwordx4 v[50:51], v[4:7], off
	v_add_co_u32_e32 v50, vcc, s3, v50
	v_mul_f64 v[4:5], v[44:45], s[0:1]
	v_mul_f64 v[6:7], v[46:47], s[0:1]
	ds_read_b128 v[44:47], v196 offset:6912
	s_waitcnt vmcnt(1) lgkmcnt(2)
	v_mul_f64 v[48:49], v[57:58], v[42:43]
	v_mul_f64 v[52:53], v[57:58], v[40:41]
	v_mov_b32_e32 v58, s2
	v_addc_co_u32_e32 v51, vcc, v51, v58, vcc
	v_fma_f64 v[48:49], v[55:56], v[40:41], v[48:49]
	v_fma_f64 v[52:53], v[55:56], v[42:43], -v[52:53]
	ds_read_b128 v[40:43], v196 offset:6656
	buffer_load_dword v59, off, s[24:27], 0 offset:148 ; 4-byte Folded Reload
	buffer_load_dword v60, off, s[24:27], 0 offset:152 ; 4-byte Folded Reload
	;; [unrolled: 1-line block ×4, first 2 shown]
	s_waitcnt vmcnt(0) lgkmcnt(1)
	v_mul_f64 v[54:55], v[61:62], v[46:47]
	v_mul_f64 v[56:57], v[61:62], v[44:45]
	global_store_dwordx4 v[50:51], v[4:7], off
	v_add_co_u32_e32 v50, vcc, s3, v50
	v_mul_f64 v[4:5], v[48:49], s[0:1]
	v_mul_f64 v[6:7], v[52:53], s[0:1]
	v_addc_co_u32_e32 v51, vcc, v51, v58, vcc
	v_fma_f64 v[44:45], v[59:60], v[44:45], v[54:55]
	v_fma_f64 v[46:47], v[59:60], v[46:47], -v[56:57]
	buffer_load_dword v54, off, s[24:27], 0 offset:192 ; 4-byte Folded Reload
	buffer_load_dword v55, off, s[24:27], 0 offset:196 ; 4-byte Folded Reload
	;; [unrolled: 1-line block ×4, first 2 shown]
	v_mov_b32_e32 v58, 0xffffe600
	global_store_dwordx4 v[50:51], v[4:7], off
	v_add_co_u32_e32 v50, vcc, s3, v50
	v_mul_f64 v[4:5], v[44:45], s[0:1]
	v_mov_b32_e32 v44, s2
	v_mul_f64 v[6:7], v[46:47], s[0:1]
	v_addc_co_u32_e32 v51, vcc, v51, v44, vcc
	ds_read_b128 v[44:47], v196 offset:1280
	s_waitcnt vmcnt(1)
	v_mul_f64 v[48:49], v[56:57], v[2:3]
	v_mul_f64 v[52:53], v[56:57], v[0:1]
	v_fma_f64 v[48:49], v[54:55], v[0:1], v[48:49]
	v_fma_f64 v[52:53], v[54:55], v[2:3], -v[52:53]
	ds_read_b128 v[0:3], v196 offset:1024
	buffer_load_dword v59, off, s[24:27], 0 offset:208 ; 4-byte Folded Reload
	buffer_load_dword v60, off, s[24:27], 0 offset:212 ; 4-byte Folded Reload
	;; [unrolled: 1-line block ×4, first 2 shown]
	s_waitcnt vmcnt(0) lgkmcnt(0)
	v_mul_f64 v[54:55], v[61:62], v[2:3]
	v_mul_f64 v[56:57], v[61:62], v[0:1]
	global_store_dwordx4 v[50:51], v[4:7], off
	v_fma_f64 v[0:1], v[59:60], v[0:1], v[54:55]
	v_fma_f64 v[2:3], v[59:60], v[2:3], -v[56:57]
	buffer_load_dword v54, off, s[24:27], 0 offset:224 ; 4-byte Folded Reload
	buffer_load_dword v55, off, s[24:27], 0 offset:228 ; 4-byte Folded Reload
	;; [unrolled: 1-line block ×4, first 2 shown]
	v_mul_f64 v[4:5], v[48:49], s[0:1]
	v_mul_f64 v[6:7], v[52:53], s[0:1]
	v_mad_u64_u32 v[48:49], s[6:7], s4, v58, v[50:51]
	s_sub_i32 s6, s5, s4
	v_mul_f64 v[0:1], v[0:1], s[0:1]
	v_add_u32_e32 v49, s6, v49
	v_mul_f64 v[2:3], v[2:3], s[0:1]
	v_mov_b32_e32 v59, s2
	global_store_dwordx4 v[48:49], v[4:7], off
	ds_read_b128 v[4:7], v196 offset:2560
	v_add_co_u32_e32 v48, vcc, s3, v48
	v_addc_co_u32_e32 v49, vcc, v49, v59, vcc
	s_waitcnt vmcnt(1)
	v_mul_f64 v[50:51], v[56:57], v[18:19]
	v_mul_f64 v[52:53], v[56:57], v[16:17]
	v_fma_f64 v[50:51], v[54:55], v[16:17], v[50:51]
	v_fma_f64 v[52:53], v[54:55], v[18:19], -v[52:53]
	ds_read_b128 v[16:19], v196 offset:2816
	buffer_load_dword v60, off, s[24:27], 0 offset:256 ; 4-byte Folded Reload
	buffer_load_dword v61, off, s[24:27], 0 offset:260 ; 4-byte Folded Reload
	;; [unrolled: 1-line block ×4, first 2 shown]
	s_waitcnt vmcnt(0) lgkmcnt(1)
	v_mul_f64 v[54:55], v[62:63], v[6:7]
	v_mul_f64 v[56:57], v[62:63], v[4:5]
	global_store_dwordx4 v[48:49], v[0:3], off
	v_add_co_u32_e32 v48, vcc, s3, v48
	v_mul_f64 v[0:1], v[50:51], s[0:1]
	v_mul_f64 v[2:3], v[52:53], s[0:1]
	v_addc_co_u32_e32 v49, vcc, v49, v59, vcc
	v_fma_f64 v[4:5], v[60:61], v[4:5], v[54:55]
	v_fma_f64 v[6:7], v[60:61], v[6:7], -v[56:57]
	buffer_load_dword v54, off, s[24:27], 0 offset:272 ; 4-byte Folded Reload
	buffer_load_dword v55, off, s[24:27], 0 offset:276 ; 4-byte Folded Reload
	buffer_load_dword v56, off, s[24:27], 0 offset:280 ; 4-byte Folded Reload
	buffer_load_dword v57, off, s[24:27], 0 offset:284 ; 4-byte Folded Reload
	s_waitcnt vmcnt(0)
	v_mul_f64 v[50:51], v[56:57], v[22:23]
	v_mul_f64 v[52:53], v[56:57], v[20:21]
	global_store_dwordx4 v[48:49], v[0:3], off
	v_add_co_u32_e32 v48, vcc, s3, v48
	v_mul_f64 v[0:1], v[4:5], s[0:1]
	v_mul_f64 v[2:3], v[6:7], s[0:1]
	ds_read_b128 v[4:7], v196 offset:4096
	v_fma_f64 v[50:51], v[54:55], v[20:21], v[50:51]
	v_fma_f64 v[52:53], v[54:55], v[22:23], -v[52:53]
	ds_read_b128 v[20:23], v196 offset:4352
	buffer_load_dword v60, off, s[24:27], 0 offset:288 ; 4-byte Folded Reload
	buffer_load_dword v61, off, s[24:27], 0 offset:292 ; 4-byte Folded Reload
	buffer_load_dword v62, off, s[24:27], 0 offset:296 ; 4-byte Folded Reload
	buffer_load_dword v63, off, s[24:27], 0 offset:300 ; 4-byte Folded Reload
	v_addc_co_u32_e32 v49, vcc, v49, v59, vcc
	global_store_dwordx4 v[48:49], v[0:3], off
	v_add_co_u32_e32 v48, vcc, s3, v48
	v_mul_f64 v[0:1], v[50:51], s[0:1]
	v_mul_f64 v[2:3], v[52:53], s[0:1]
	v_addc_co_u32_e32 v49, vcc, v49, v59, vcc
	s_waitcnt vmcnt(1) lgkmcnt(1)
	v_mul_f64 v[54:55], v[62:63], v[6:7]
	v_mul_f64 v[56:57], v[62:63], v[4:5]
	v_fma_f64 v[4:5], v[60:61], v[4:5], v[54:55]
	v_fma_f64 v[6:7], v[60:61], v[6:7], -v[56:57]
	buffer_load_dword v54, off, s[24:27], 0 offset:320 ; 4-byte Folded Reload
	buffer_load_dword v55, off, s[24:27], 0 offset:324 ; 4-byte Folded Reload
	buffer_load_dword v56, off, s[24:27], 0 offset:328 ; 4-byte Folded Reload
	buffer_load_dword v57, off, s[24:27], 0 offset:332 ; 4-byte Folded Reload
	s_waitcnt vmcnt(0)
	v_mul_f64 v[50:51], v[56:57], v[30:31]
	v_mul_f64 v[52:53], v[56:57], v[28:29]
	global_store_dwordx4 v[48:49], v[0:3], off
	v_add_co_u32_e32 v48, vcc, s3, v48
	v_mul_f64 v[0:1], v[4:5], s[0:1]
	v_mul_f64 v[2:3], v[6:7], s[0:1]
	ds_read_b128 v[4:7], v196 offset:5632
	v_fma_f64 v[50:51], v[54:55], v[28:29], v[50:51]
	v_fma_f64 v[52:53], v[54:55], v[30:31], -v[52:53]
	ds_read_b128 v[28:31], v196 offset:5888
	buffer_load_dword v60, off, s[24:27], 0 offset:336 ; 4-byte Folded Reload
	buffer_load_dword v61, off, s[24:27], 0 offset:340 ; 4-byte Folded Reload
	buffer_load_dword v62, off, s[24:27], 0 offset:344 ; 4-byte Folded Reload
	buffer_load_dword v63, off, s[24:27], 0 offset:348 ; 4-byte Folded Reload
	v_addc_co_u32_e32 v49, vcc, v49, v59, vcc
	global_store_dwordx4 v[48:49], v[0:3], off
	v_add_co_u32_e32 v48, vcc, s3, v48
	v_mul_f64 v[0:1], v[50:51], s[0:1]
	v_mul_f64 v[2:3], v[52:53], s[0:1]
	v_addc_co_u32_e32 v49, vcc, v49, v59, vcc
	s_waitcnt vmcnt(1) lgkmcnt(1)
	v_mul_f64 v[54:55], v[62:63], v[6:7]
	v_mul_f64 v[56:57], v[62:63], v[4:5]
	;; [unrolled: 30-line block ×3, first 2 shown]
	v_fma_f64 v[4:5], v[60:61], v[4:5], v[54:55]
	v_fma_f64 v[6:7], v[60:61], v[6:7], -v[56:57]
	buffer_load_dword v60, off, s[24:27], 0 offset:368 ; 4-byte Folded Reload
	buffer_load_dword v61, off, s[24:27], 0 offset:372 ; 4-byte Folded Reload
	;; [unrolled: 1-line block ×4, first 2 shown]
	v_mov_b32_e32 v54, s2
	global_store_dwordx4 v[48:49], v[0:3], off
	v_add_co_u32_e32 v48, vcc, s3, v48
	v_addc_co_u32_e32 v49, vcc, v49, v54, vcc
	v_mul_f64 v[0:1], v[4:5], s[0:1]
	v_mul_f64 v[2:3], v[6:7], s[0:1]
	s_waitcnt vmcnt(1)
	v_mul_f64 v[50:51], v[62:63], v[14:15]
	v_mul_f64 v[52:53], v[62:63], v[12:13]
	v_fma_f64 v[4:5], v[60:61], v[12:13], v[50:51]
	v_fma_f64 v[6:7], v[60:61], v[14:15], -v[52:53]
	buffer_load_dword v50, off, s[24:27], 0 offset:384 ; 4-byte Folded Reload
	buffer_load_dword v51, off, s[24:27], 0 offset:388 ; 4-byte Folded Reload
	;; [unrolled: 1-line block ×4, first 2 shown]
	v_mul_f64 v[4:5], v[4:5], s[0:1]
	v_mul_f64 v[6:7], v[6:7], s[0:1]
	s_waitcnt vmcnt(0)
	v_mul_f64 v[12:13], v[52:53], v[46:47]
	v_mul_f64 v[14:15], v[52:53], v[44:45]
	buffer_load_dword v52, off, s[24:27], 0 offset:400 ; 4-byte Folded Reload
	buffer_load_dword v53, off, s[24:27], 0 offset:404 ; 4-byte Folded Reload
	;; [unrolled: 1-line block ×4, first 2 shown]
	v_fma_f64 v[12:13], v[50:51], v[44:45], v[12:13]
	v_fma_f64 v[14:15], v[50:51], v[46:47], -v[14:15]
	v_mad_u64_u32 v[44:45], s[4:5], s4, v58, v[48:49]
	global_store_dwordx4 v[48:49], v[0:3], off
	v_add_u32_e32 v45, s6, v45
	global_store_dwordx4 v[44:45], v[4:7], off
	v_mul_f64 v[0:1], v[12:13], s[0:1]
	v_mul_f64 v[2:3], v[14:15], s[0:1]
	v_mov_b32_e32 v13, s2
	v_add_co_u32_e32 v12, vcc, s3, v44
	v_addc_co_u32_e32 v13, vcc, v45, v13, vcc
	v_mov_b32_e32 v14, s2
	s_waitcnt vmcnt(2)
	v_mul_f64 v[46:47], v[54:55], v[10:11]
	v_mul_f64 v[50:51], v[54:55], v[8:9]
	v_fma_f64 v[4:5], v[52:53], v[8:9], v[46:47]
	buffer_load_dword v46, off, s[24:27], 0 offset:416 ; 4-byte Folded Reload
	buffer_load_dword v47, off, s[24:27], 0 offset:420 ; 4-byte Folded Reload
	;; [unrolled: 1-line block ×4, first 2 shown]
	v_fma_f64 v[6:7], v[52:53], v[10:11], -v[50:51]
	global_store_dwordx4 v[12:13], v[0:3], off
	v_add_co_u32_e32 v12, vcc, s3, v12
	v_addc_co_u32_e32 v13, vcc, v13, v14, vcc
	v_mul_f64 v[0:1], v[4:5], s[0:1]
	v_mul_f64 v[2:3], v[6:7], s[0:1]
	s_waitcnt vmcnt(1)
	v_mul_f64 v[8:9], v[48:49], v[18:19]
	v_mul_f64 v[10:11], v[48:49], v[16:17]
	v_fma_f64 v[4:5], v[46:47], v[16:17], v[8:9]
	v_fma_f64 v[6:7], v[46:47], v[18:19], -v[10:11]
	buffer_load_dword v15, off, s[24:27], 0 offset:432 ; 4-byte Folded Reload
	buffer_load_dword v16, off, s[24:27], 0 offset:436 ; 4-byte Folded Reload
	buffer_load_dword v17, off, s[24:27], 0 offset:440 ; 4-byte Folded Reload
	buffer_load_dword v18, off, s[24:27], 0 offset:444 ; 4-byte Folded Reload
	s_waitcnt vmcnt(0)
	v_mul_f64 v[8:9], v[17:18], v[26:27]
	v_mul_f64 v[10:11], v[17:18], v[24:25]
	global_store_dwordx4 v[12:13], v[0:3], off
	v_add_co_u32_e32 v12, vcc, s3, v12
	v_mul_f64 v[0:1], v[4:5], s[0:1]
	v_mul_f64 v[2:3], v[6:7], s[0:1]
	v_addc_co_u32_e32 v13, vcc, v13, v14, vcc
	v_fma_f64 v[4:5], v[15:16], v[24:25], v[8:9]
	v_fma_f64 v[6:7], v[15:16], v[26:27], -v[10:11]
	buffer_load_dword v15, off, s[24:27], 0 offset:448 ; 4-byte Folded Reload
	buffer_load_dword v16, off, s[24:27], 0 offset:452 ; 4-byte Folded Reload
	buffer_load_dword v17, off, s[24:27], 0 offset:456 ; 4-byte Folded Reload
	buffer_load_dword v18, off, s[24:27], 0 offset:460 ; 4-byte Folded Reload
	s_waitcnt vmcnt(0)
	v_mul_f64 v[8:9], v[17:18], v[22:23]
	v_mul_f64 v[10:11], v[17:18], v[20:21]
	global_store_dwordx4 v[12:13], v[0:3], off
	v_add_co_u32_e32 v12, vcc, s3, v12
	v_mul_f64 v[0:1], v[4:5], s[0:1]
	v_mul_f64 v[2:3], v[6:7], s[0:1]
	v_addc_co_u32_e32 v13, vcc, v13, v14, vcc
	;; [unrolled: 14-line block ×3, first 2 shown]
	v_fma_f64 v[4:5], v[15:16], v[32:33], v[8:9]
	v_fma_f64 v[6:7], v[15:16], v[34:35], -v[10:11]
	buffer_load_dword v15, off, s[24:27], 0 offset:480 ; 4-byte Folded Reload
	buffer_load_dword v16, off, s[24:27], 0 offset:484 ; 4-byte Folded Reload
	;; [unrolled: 1-line block ×4, first 2 shown]
	s_waitcnt vmcnt(0)
	v_mul_f64 v[8:9], v[17:18], v[30:31]
	global_store_dwordx4 v[12:13], v[0:3], off
	buffer_load_dword v19, off, s[24:27], 0 offset:496 ; 4-byte Folded Reload
	buffer_load_dword v20, off, s[24:27], 0 offset:500 ; 4-byte Folded Reload
	buffer_load_dword v21, off, s[24:27], 0 offset:504 ; 4-byte Folded Reload
	buffer_load_dword v22, off, s[24:27], 0 offset:508 ; 4-byte Folded Reload
	v_mul_f64 v[10:11], v[17:18], v[28:29]
	v_mul_f64 v[0:1], v[4:5], s[0:1]
	;; [unrolled: 1-line block ×3, first 2 shown]
	v_mov_b32_e32 v18, s2
	v_fma_f64 v[4:5], v[15:16], v[28:29], v[8:9]
	v_add_co_u32_e32 v8, vcc, s3, v12
	v_fma_f64 v[6:7], v[15:16], v[30:31], -v[10:11]
	v_addc_co_u32_e32 v9, vcc, v13, v14, vcc
	s_waitcnt vmcnt(0)
	v_mul_f64 v[10:11], v[21:22], v[42:43]
	v_mul_f64 v[12:13], v[21:22], v[40:41]
	buffer_load_dword v21, off, s[24:27], 0 offset:512 ; 4-byte Folded Reload
	buffer_load_dword v22, off, s[24:27], 0 offset:516 ; 4-byte Folded Reload
	;; [unrolled: 1-line block ×4, first 2 shown]
	s_waitcnt vmcnt(0) lgkmcnt(0)
	v_mul_f64 v[14:15], v[23:24], v[38:39]
	v_mul_f64 v[16:17], v[23:24], v[36:37]
	global_store_dwordx4 v[8:9], v[0:3], off
	v_add_co_u32_e32 v8, vcc, s3, v8
	v_mul_f64 v[0:1], v[4:5], s[0:1]
	v_mul_f64 v[2:3], v[6:7], s[0:1]
	v_fma_f64 v[4:5], v[19:20], v[40:41], v[10:11]
	v_fma_f64 v[6:7], v[19:20], v[42:43], -v[12:13]
	v_fma_f64 v[10:11], v[21:22], v[36:37], v[14:15]
	v_fma_f64 v[12:13], v[21:22], v[38:39], -v[16:17]
	v_addc_co_u32_e32 v9, vcc, v9, v18, vcc
	v_mov_b32_e32 v14, s2
	global_store_dwordx4 v[8:9], v[0:3], off
	v_add_co_u32_e32 v8, vcc, s3, v8
	v_mul_f64 v[0:1], v[4:5], s[0:1]
	v_mul_f64 v[2:3], v[6:7], s[0:1]
	;; [unrolled: 1-line block ×4, first 2 shown]
	v_addc_co_u32_e32 v9, vcc, v9, v14, vcc
	global_store_dwordx4 v[8:9], v[0:3], off
	s_nop 0
	v_mov_b32_e32 v1, s2
	v_add_co_u32_e32 v0, vcc, s3, v8
	v_addc_co_u32_e32 v1, vcc, v9, v1, vcc
	global_store_dwordx4 v[0:1], v[4:7], off
.LBB0_10:
	s_endpgm
	.section	.rodata,"a",@progbits
	.p2align	6, 0x0
	.amdhsa_kernel bluestein_single_back_len480_dim1_dp_op_CI_CI
		.amdhsa_group_segment_fixed_size 30720
		.amdhsa_private_segment_fixed_size 1116
		.amdhsa_kernarg_size 104
		.amdhsa_user_sgpr_count 6
		.amdhsa_user_sgpr_private_segment_buffer 1
		.amdhsa_user_sgpr_dispatch_ptr 0
		.amdhsa_user_sgpr_queue_ptr 0
		.amdhsa_user_sgpr_kernarg_segment_ptr 1
		.amdhsa_user_sgpr_dispatch_id 0
		.amdhsa_user_sgpr_flat_scratch_init 0
		.amdhsa_user_sgpr_private_segment_size 0
		.amdhsa_uses_dynamic_stack 0
		.amdhsa_system_sgpr_private_segment_wavefront_offset 1
		.amdhsa_system_sgpr_workgroup_id_x 1
		.amdhsa_system_sgpr_workgroup_id_y 0
		.amdhsa_system_sgpr_workgroup_id_z 0
		.amdhsa_system_sgpr_workgroup_info 0
		.amdhsa_system_vgpr_workitem_id 0
		.amdhsa_next_free_vgpr 256
		.amdhsa_next_free_sgpr 28
		.amdhsa_reserve_vcc 1
		.amdhsa_reserve_flat_scratch 0
		.amdhsa_float_round_mode_32 0
		.amdhsa_float_round_mode_16_64 0
		.amdhsa_float_denorm_mode_32 3
		.amdhsa_float_denorm_mode_16_64 3
		.amdhsa_dx10_clamp 1
		.amdhsa_ieee_mode 1
		.amdhsa_fp16_overflow 0
		.amdhsa_exception_fp_ieee_invalid_op 0
		.amdhsa_exception_fp_denorm_src 0
		.amdhsa_exception_fp_ieee_div_zero 0
		.amdhsa_exception_fp_ieee_overflow 0
		.amdhsa_exception_fp_ieee_underflow 0
		.amdhsa_exception_fp_ieee_inexact 0
		.amdhsa_exception_int_div_zero 0
	.end_amdhsa_kernel
	.text
.Lfunc_end0:
	.size	bluestein_single_back_len480_dim1_dp_op_CI_CI, .Lfunc_end0-bluestein_single_back_len480_dim1_dp_op_CI_CI
                                        ; -- End function
	.section	.AMDGPU.csdata,"",@progbits
; Kernel info:
; codeLenInByte = 34144
; NumSgprs: 32
; NumVgprs: 256
; ScratchSize: 1116
; MemoryBound: 0
; FloatMode: 240
; IeeeMode: 1
; LDSByteSize: 30720 bytes/workgroup (compile time only)
; SGPRBlocks: 3
; VGPRBlocks: 63
; NumSGPRsForWavesPerEU: 32
; NumVGPRsForWavesPerEU: 256
; Occupancy: 1
; WaveLimiterHint : 1
; COMPUTE_PGM_RSRC2:SCRATCH_EN: 1
; COMPUTE_PGM_RSRC2:USER_SGPR: 6
; COMPUTE_PGM_RSRC2:TRAP_HANDLER: 0
; COMPUTE_PGM_RSRC2:TGID_X_EN: 1
; COMPUTE_PGM_RSRC2:TGID_Y_EN: 0
; COMPUTE_PGM_RSRC2:TGID_Z_EN: 0
; COMPUTE_PGM_RSRC2:TIDIG_COMP_CNT: 0
	.type	__hip_cuid_9d5e3292a7cc40ca,@object ; @__hip_cuid_9d5e3292a7cc40ca
	.section	.bss,"aw",@nobits
	.globl	__hip_cuid_9d5e3292a7cc40ca
__hip_cuid_9d5e3292a7cc40ca:
	.byte	0                               ; 0x0
	.size	__hip_cuid_9d5e3292a7cc40ca, 1

	.ident	"AMD clang version 19.0.0git (https://github.com/RadeonOpenCompute/llvm-project roc-6.4.0 25133 c7fe45cf4b819c5991fe208aaa96edf142730f1d)"
	.section	".note.GNU-stack","",@progbits
	.addrsig
	.addrsig_sym __hip_cuid_9d5e3292a7cc40ca
	.amdgpu_metadata
---
amdhsa.kernels:
  - .args:
      - .actual_access:  read_only
        .address_space:  global
        .offset:         0
        .size:           8
        .value_kind:     global_buffer
      - .actual_access:  read_only
        .address_space:  global
        .offset:         8
        .size:           8
        .value_kind:     global_buffer
      - .actual_access:  read_only
        .address_space:  global
        .offset:         16
        .size:           8
        .value_kind:     global_buffer
      - .actual_access:  read_only
        .address_space:  global
        .offset:         24
        .size:           8
        .value_kind:     global_buffer
      - .actual_access:  read_only
        .address_space:  global
        .offset:         32
        .size:           8
        .value_kind:     global_buffer
      - .offset:         40
        .size:           8
        .value_kind:     by_value
      - .address_space:  global
        .offset:         48
        .size:           8
        .value_kind:     global_buffer
      - .address_space:  global
        .offset:         56
        .size:           8
        .value_kind:     global_buffer
      - .address_space:  global
        .offset:         64
        .size:           8
        .value_kind:     global_buffer
      - .address_space:  global
        .offset:         72
        .size:           8
        .value_kind:     global_buffer
      - .offset:         80
        .size:           4
        .value_kind:     by_value
      - .address_space:  global
        .offset:         88
        .size:           8
        .value_kind:     global_buffer
      - .address_space:  global
        .offset:         96
        .size:           8
        .value_kind:     global_buffer
    .group_segment_fixed_size: 30720
    .kernarg_segment_align: 8
    .kernarg_segment_size: 104
    .language:       OpenCL C
    .language_version:
      - 2
      - 0
    .max_flat_workgroup_size: 64
    .name:           bluestein_single_back_len480_dim1_dp_op_CI_CI
    .private_segment_fixed_size: 1116
    .sgpr_count:     32
    .sgpr_spill_count: 0
    .symbol:         bluestein_single_back_len480_dim1_dp_op_CI_CI.kd
    .uniform_work_group_size: 1
    .uses_dynamic_stack: false
    .vgpr_count:     256
    .vgpr_spill_count: 286
    .wavefront_size: 64
amdhsa.target:   amdgcn-amd-amdhsa--gfx906
amdhsa.version:
  - 1
  - 2
...

	.end_amdgpu_metadata
